;; amdgpu-corpus repo=ROCm/rocFFT kind=compiled arch=gfx1201 opt=O3
	.text
	.amdgcn_target "amdgcn-amd-amdhsa--gfx1201"
	.amdhsa_code_object_version 6
	.protected	bluestein_single_back_len270_dim1_sp_op_CI_CI ; -- Begin function bluestein_single_back_len270_dim1_sp_op_CI_CI
	.globl	bluestein_single_back_len270_dim1_sp_op_CI_CI
	.p2align	8
	.type	bluestein_single_back_len270_dim1_sp_op_CI_CI,@function
bluestein_single_back_len270_dim1_sp_op_CI_CI: ; @bluestein_single_back_len270_dim1_sp_op_CI_CI
; %bb.0:
	s_load_b128 s[12:15], s[0:1], 0x28
	v_mul_u32_u24_e32 v1, 0x97c, v0
	v_mov_b32_e32 v73, 0
	s_mov_b32 s2, exec_lo
	s_delay_alu instid0(VALU_DEP_2) | instskip(NEXT) | instid1(VALU_DEP_1)
	v_lshrrev_b32_e32 v1, 16, v1
	v_lshl_add_u32 v72, ttmp9, 2, v1
	s_wait_kmcnt 0x0
	s_delay_alu instid0(VALU_DEP_1)
	v_cmpx_gt_u64_e64 s[12:13], v[72:73]
	s_cbranch_execz .LBB0_26
; %bb.1:
	s_clause 0x1
	s_load_b128 s[4:7], s[0:1], 0x18
	s_load_b128 s[8:11], s[0:1], 0x0
	v_mul_lo_u16 v2, v1, 27
	s_delay_alu instid0(VALU_DEP_1) | instskip(NEXT) | instid1(VALU_DEP_1)
	v_sub_nc_u16 v0, v0, v2
	v_and_b32_e32 v101, 0xffff, v0
	s_delay_alu instid0(VALU_DEP_1)
	v_lshlrev_b32_e32 v105, 3, v101
	s_wait_kmcnt 0x0
	s_load_b128 s[16:19], s[4:5], 0x0
	s_clause 0x3
	global_load_b64 v[73:74], v105, s[8:9]
	global_load_b64 v[75:76], v105, s[8:9] offset:216
	global_load_b64 v[77:78], v105, s[8:9] offset:432
	;; [unrolled: 1-line block ×3, first 2 shown]
	v_and_b32_e32 v1, 3, v1
	s_clause 0x3
	global_load_b64 v[81:82], v105, s[8:9] offset:864
	global_load_b64 v[83:84], v105, s[8:9] offset:1080
	;; [unrolled: 1-line block ×4, first 2 shown]
	v_mul_u32_u24_e32 v1, 0x10e, v1
	s_delay_alu instid0(VALU_DEP_1) | instskip(NEXT) | instid1(VALU_DEP_1)
	v_lshlrev_b32_e32 v103, 3, v1
	v_add_nc_u32_e32 v102, v103, v105
	s_wait_kmcnt 0x0
	v_mad_co_u64_u32 v[2:3], null, s18, v72, 0
	v_mad_co_u64_u32 v[4:5], null, s16, v101, 0
	s_mul_u64 s[2:3], s[16:17], 0xd8
	s_delay_alu instid0(VALU_DEP_1) | instskip(NEXT) | instid1(VALU_DEP_1)
	v_mad_co_u64_u32 v[6:7], null, s19, v72, v[3:4]
	v_mad_co_u64_u32 v[7:8], null, s17, v101, v[5:6]
	v_mov_b32_e32 v3, v6
	s_delay_alu instid0(VALU_DEP_1) | instskip(NEXT) | instid1(VALU_DEP_3)
	v_lshlrev_b64_e32 v[2:3], 3, v[2:3]
	v_mov_b32_e32 v5, v7
	s_delay_alu instid0(VALU_DEP_2) | instskip(NEXT) | instid1(VALU_DEP_2)
	v_add_co_u32 v2, vcc_lo, s14, v2
	v_lshlrev_b64_e32 v[4:5], 3, v[4:5]
	s_delay_alu instid0(VALU_DEP_4) | instskip(NEXT) | instid1(VALU_DEP_2)
	v_add_co_ci_u32_e32 v3, vcc_lo, s15, v3, vcc_lo
	v_add_co_u32 v2, vcc_lo, v2, v4
	s_wait_alu 0xfffd
	s_delay_alu instid0(VALU_DEP_2) | instskip(NEXT) | instid1(VALU_DEP_2)
	v_add_co_ci_u32_e32 v3, vcc_lo, v3, v5, vcc_lo
	v_add_co_u32 v4, vcc_lo, v2, s2
	s_wait_alu 0xfffd
	s_delay_alu instid0(VALU_DEP_2) | instskip(SKIP_4) | instid1(VALU_DEP_2)
	v_add_co_ci_u32_e32 v5, vcc_lo, s3, v3, vcc_lo
	global_load_b64 v[2:3], v[2:3], off
	v_add_co_u32 v6, vcc_lo, v4, s2
	s_wait_alu 0xfffd
	v_add_co_ci_u32_e32 v7, vcc_lo, s3, v5, vcc_lo
	v_add_co_u32 v8, vcc_lo, v6, s2
	s_wait_alu 0xfffd
	s_delay_alu instid0(VALU_DEP_2) | instskip(NEXT) | instid1(VALU_DEP_2)
	v_add_co_ci_u32_e32 v9, vcc_lo, s3, v7, vcc_lo
	v_add_co_u32 v10, vcc_lo, v8, s2
	s_wait_alu 0xfffd
	s_delay_alu instid0(VALU_DEP_2)
	v_add_co_ci_u32_e32 v11, vcc_lo, s3, v9, vcc_lo
	s_clause 0x2
	global_load_b64 v[4:5], v[4:5], off
	global_load_b64 v[6:7], v[6:7], off
	;; [unrolled: 1-line block ×3, first 2 shown]
	v_add_co_u32 v12, vcc_lo, v10, s2
	s_wait_alu 0xfffd
	v_add_co_ci_u32_e32 v13, vcc_lo, s3, v11, vcc_lo
	global_load_b64 v[10:11], v[10:11], off
	v_add_co_u32 v14, vcc_lo, v12, s2
	s_wait_alu 0xfffd
	v_add_co_ci_u32_e32 v15, vcc_lo, s3, v13, vcc_lo
	global_load_b64 v[12:13], v[12:13], off
	;; [unrolled: 4-line block ×4, first 2 shown]
	v_add_co_u32 v20, vcc_lo, v18, s2
	s_wait_alu 0xfffd
	v_add_co_ci_u32_e32 v21, vcc_lo, s3, v19, vcc_lo
	s_load_b64 s[2:3], s[0:1], 0x38
	v_cmp_gt_u16_e32 vcc_lo, 9, v0
	s_wait_loadcnt 0x6
	v_dual_mul_f32 v23, v2, v74 :: v_dual_mul_f32 v22, v5, v76
	global_load_b64 v[18:19], v[18:19], off
	s_clause 0x1
	global_load_b64 v[89:90], v105, s[8:9] offset:1728
	global_load_b64 v[91:92], v105, s[8:9] offset:1944
	global_load_b64 v[20:21], v[20:21], off
	s_wait_loadcnt 0x9
	v_mul_f32_e32 v24, v7, v78
	v_mul_f32_e32 v1, v3, v74
	;; [unrolled: 1-line block ×3, first 2 shown]
	v_fmac_f32_e32 v22, v4, v75
	v_mul_f32_e32 v4, v6, v78
	s_wait_loadcnt 0x7
	v_mul_f32_e32 v26, v10, v82
	v_fmac_f32_e32 v24, v6, v77
	v_dual_mul_f32 v6, v8, v80 :: v_dual_fmac_f32 v1, v2, v73
	v_fma_f32 v2, v3, v73, -v23
	v_fma_f32 v23, v5, v75, -v25
	v_mul_f32_e32 v3, v9, v80
	v_mul_f32_e32 v5, v11, v82
	v_fma_f32 v25, v7, v77, -v4
	v_fma_f32 v4, v9, v79, -v6
	s_wait_loadcnt 0x5
	v_mul_f32_e32 v9, v15, v88
	v_mul_f32_e32 v7, v13, v84
	v_fmac_f32_e32 v5, v10, v81
	v_fma_f32 v6, v11, v81, -v26
	s_wait_loadcnt 0x4
	v_dual_mul_f32 v10, v14, v88 :: v_dual_mul_f32 v11, v17, v86
	v_fmac_f32_e32 v9, v14, v87
	v_fmac_f32_e32 v7, v12, v83
	s_load_b128 s[4:7], s[6:7], 0x0
	s_delay_alu instid0(VALU_DEP_3)
	v_fma_f32 v10, v15, v87, -v10
	s_wait_loadcnt 0x2
	v_dual_fmac_f32 v11, v16, v85 :: v_dual_mul_f32 v14, v18, v90
	v_fmac_f32_e32 v3, v8, v79
	v_mul_f32_e32 v8, v12, v84
	s_wait_loadcnt 0x0
	v_dual_mul_f32 v12, v16, v86 :: v_dual_mul_f32 v15, v21, v92
	v_mul_f32_e32 v16, v20, v92
	v_fma_f32 v14, v19, v89, -v14
	v_fma_f32 v8, v13, v83, -v8
	v_mul_f32_e32 v13, v19, v90
	v_fma_f32 v12, v17, v85, -v12
	v_fmac_f32_e32 v15, v20, v91
	v_fma_f32 v16, v21, v91, -v16
	v_mul_lo_u16 v21, v0, 10
	v_fmac_f32_e32 v13, v18, v89
	ds_store_2addr_b64 v102, v[1:2], v[22:23] offset1:27
	ds_store_2addr_b64 v102, v[24:25], v[3:4] offset0:54 offset1:81
	ds_store_2addr_b64 v102, v[5:6], v[7:8] offset0:108 offset1:135
	;; [unrolled: 1-line block ×4, first 2 shown]
	global_wb scope:SCOPE_SE
	s_wait_dscnt 0x0
	s_wait_kmcnt 0x0
	s_barrier_signal -1
	s_barrier_wait -1
	global_inv scope:SCOPE_SE
	ds_load_2addr_b64 v[1:4], v102 offset1:27
	ds_load_2addr_b64 v[5:8], v102 offset0:54 offset1:81
	ds_load_2addr_b64 v[9:12], v102 offset0:108 offset1:135
	;; [unrolled: 1-line block ×4, first 2 shown]
	v_and_b32_e32 v21, 0xffff, v21
	global_wb scope:SCOPE_SE
	s_wait_dscnt 0x0
	s_barrier_signal -1
	s_barrier_wait -1
	global_inv scope:SCOPE_SE
	v_add_f32_e32 v30, v2, v6
	v_dual_add_f32 v46, v4, v8 :: v_dual_add_f32 v31, v10, v14
	v_dual_sub_f32 v52, v16, v20 :: v_dual_sub_f32 v29, v13, v17
	v_sub_f32_e32 v49, v8, v12
	v_add_f32_e32 v51, v8, v20
	v_sub_f32_e32 v39, v8, v20
	v_sub_f32_e32 v8, v12, v8
	v_dual_add_f32 v22, v9, v13 :: v_dual_sub_f32 v23, v6, v18
	v_sub_f32_e32 v42, v19, v15
	v_dual_sub_f32 v24, v10, v14 :: v_dual_sub_f32 v25, v5, v9
	v_sub_f32_e32 v44, v11, v7
	v_sub_f32_e32 v26, v17, v13
	v_dual_add_f32 v27, v5, v17 :: v_dual_sub_f32 v48, v11, v15
	v_sub_f32_e32 v28, v9, v5
	v_dual_sub_f32 v36, v14, v18 :: v_dual_add_f32 v37, v3, v7
	v_sub_f32_e32 v33, v6, v10
	v_dual_sub_f32 v45, v15, v19 :: v_dual_add_f32 v8, v8, v52
	v_add_f32_e32 v35, v6, v18
	v_sub_f32_e32 v6, v10, v6
	v_lshl_add_u32 v104, v21, 3, v103
	v_add_f32_e32 v21, v1, v5
	v_dual_sub_f32 v5, v5, v17 :: v_dual_add_f32 v10, v30, v10
	v_sub_f32_e32 v32, v9, v13
	v_dual_sub_f32 v40, v12, v16 :: v_dual_sub_f32 v41, v7, v11
	v_add_f32_e32 v43, v7, v19
	s_delay_alu instid0(VALU_DEP_4)
	v_dual_add_f32 v47, v12, v16 :: v_dual_add_f32 v10, v10, v14
	v_add_f32_e32 v9, v21, v9
	v_fma_f32 v21, -0.5, v22, v1
	v_add_f32_e32 v22, v25, v26
	v_fma_f32 v25, -0.5, v27, v1
	;; [unrolled: 2-line block ×4, first 2 shown]
	v_add_f32_e32 v2, v6, v36
	v_add_f32_e32 v6, v37, v11
	;; [unrolled: 1-line block ×3, first 2 shown]
	v_sub_f32_e32 v34, v18, v14
	v_dual_add_f32 v38, v11, v15 :: v_dual_add_f32 v29, v41, v42
	v_fma_f32 v31, -0.5, v47, v4
	s_delay_alu instid0(VALU_DEP_4)
	v_add_f32_e32 v12, v12, v16
	v_fmamk_f32 v36, v32, 0x3f737871, v28
	v_fmac_f32_e32 v28, 0xbf737871, v32
	v_add_f32_e32 v6, v6, v15
	v_dual_fmac_f32 v4, -0.5, v51 :: v_dual_add_f32 v9, v9, v13
	v_dual_fmamk_f32 v13, v23, 0x3f737871, v21 :: v_dual_add_f32 v10, v10, v18
	v_fmamk_f32 v35, v5, 0xbf737871, v26
	v_dual_fmac_f32 v26, 0x3f737871, v5 :: v_dual_sub_f32 v7, v7, v19
	v_sub_f32_e32 v50, v20, v16
	v_fma_f32 v11, -0.5, v38, v3
	v_add_f32_e32 v27, v33, v34
	v_fmac_f32_e32 v21, 0xbf737871, v23
	v_fmamk_f32 v34, v24, 0xbf737871, v25
	v_dual_fmac_f32 v13, 0x3f167918, v24 :: v_dual_fmac_f32 v28, 0x3f167918, v5
	v_fmac_f32_e32 v26, 0x3f167918, v32
	v_dual_fmac_f32 v36, 0xbf167918, v5 :: v_dual_add_f32 v5, v6, v19
	v_add_f32_e32 v6, v12, v20
	v_fmac_f32_e32 v25, 0x3f737871, v24
	v_fma_f32 v3, -0.5, v43, v3
	v_dual_add_f32 v33, v49, v50 :: v_dual_fmamk_f32 v16, v7, 0xbf737871, v31
	v_fmac_f32_e32 v36, 0x3e9e377a, v2
	v_fmac_f32_e32 v28, 0x3e9e377a, v2
	v_dual_add_f32 v2, v10, v6 :: v_dual_fmac_f32 v25, 0xbf167918, v23
	s_delay_alu instid0(VALU_DEP_4)
	v_fmac_f32_e32 v16, 0xbf167918, v48
	v_fmamk_f32 v14, v39, 0x3f737871, v11
	v_fmac_f32_e32 v26, 0x3e9e377a, v27
	v_fmamk_f32 v15, v40, 0xbf737871, v3
	v_fmac_f32_e32 v25, 0x3e9e377a, v1
	v_fmac_f32_e32 v13, 0x3e9e377a, v22
	;; [unrolled: 1-line block ×3, first 2 shown]
	v_fmamk_f32 v37, v48, 0x3f737871, v4
	v_fmac_f32_e32 v15, 0x3f167918, v39
	v_dual_fmac_f32 v4, 0xbf737871, v48 :: v_dual_add_f32 v9, v9, v17
	v_fmac_f32_e32 v34, 0x3f167918, v23
	s_delay_alu instid0(VALU_DEP_3) | instskip(SKIP_2) | instid1(VALU_DEP_4)
	v_dual_fmac_f32 v14, 0x3e9e377a, v29 :: v_dual_fmac_f32 v15, 0x3e9e377a, v30
	v_fmac_f32_e32 v21, 0xbf167918, v24
	v_fmac_f32_e32 v16, 0x3e9e377a, v33
	;; [unrolled: 1-line block ×3, first 2 shown]
	s_delay_alu instid0(VALU_DEP_4) | instskip(SKIP_3) | instid1(VALU_DEP_4)
	v_mul_f32_e32 v17, 0x3f4f1bbd, v14
	v_mul_f32_e32 v23, 0xbf737871, v15
	v_fmac_f32_e32 v21, 0x3e9e377a, v22
	v_dual_fmac_f32 v4, 0x3f167918, v7 :: v_dual_add_f32 v1, v9, v5
	v_fmac_f32_e32 v17, 0x3f167918, v16
	v_fmac_f32_e32 v31, 0x3f737871, v7
	v_mul_f32_e32 v22, 0xbf167918, v14
	s_delay_alu instid0(VALU_DEP_4) | instskip(NEXT) | instid1(VALU_DEP_4)
	v_fmac_f32_e32 v4, 0x3e9e377a, v8
	v_dual_sub_f32 v18, v13, v17 :: v_dual_fmac_f32 v37, 0xbf167918, v7
	v_sub_f32_e32 v7, v9, v5
	s_delay_alu instid0(VALU_DEP_3) | instskip(SKIP_1) | instid1(VALU_DEP_4)
	v_mul_f32_e32 v9, 0x3e9e377a, v4
	v_fmac_f32_e32 v22, 0x3f4f1bbd, v16
	v_dual_fmac_f32 v37, 0x3e9e377a, v8 :: v_dual_sub_f32 v8, v10, v6
	s_delay_alu instid0(VALU_DEP_1) | instskip(SKIP_2) | instid1(VALU_DEP_2)
	v_fmac_f32_e32 v23, 0x3e9e377a, v37
	v_fmac_f32_e32 v3, 0x3f737871, v40
	v_mul_f32_e32 v19, 0x3f737871, v37
	v_fmac_f32_e32 v3, 0xbf167918, v39
	s_delay_alu instid0(VALU_DEP_2) | instskip(SKIP_1) | instid1(VALU_DEP_2)
	v_fmac_f32_e32 v19, 0x3e9e377a, v15
	v_fmac_f32_e32 v35, 0xbf167918, v32
	v_dual_fmac_f32 v3, 0x3e9e377a, v30 :: v_dual_sub_f32 v20, v34, v19
	s_delay_alu instid0(VALU_DEP_2) | instskip(NEXT) | instid1(VALU_DEP_2)
	v_fmac_f32_e32 v35, 0x3e9e377a, v27
	v_mul_f32_e32 v5, 0x3e9e377a, v3
	v_fma_f32 v24, 0xbf737871, v3, -v9
	v_add_f32_e32 v3, v13, v17
	v_fmac_f32_e32 v11, 0xbf737871, v39
	v_add_f32_e32 v9, v34, v19
	v_fma_f32 v14, 0x3f737871, v4, -v5
	v_add_f32_e32 v4, v35, v22
	v_add_f32_e32 v12, v28, v24
	v_fmac_f32_e32 v11, 0xbf167918, v40
	v_fmac_f32_e32 v31, 0x3f167918, v48
	v_sub_f32_e32 v19, v35, v22
                                        ; implicit-def: $vgpr40
	s_delay_alu instid0(VALU_DEP_3) | instskip(NEXT) | instid1(VALU_DEP_3)
	v_fmac_f32_e32 v11, 0x3e9e377a, v29
	v_fmac_f32_e32 v31, 0x3e9e377a, v33
	s_delay_alu instid0(VALU_DEP_2) | instskip(NEXT) | instid1(VALU_DEP_2)
	v_mul_f32_e32 v6, 0x3f4f1bbd, v11
	v_mul_f32_e32 v10, 0x3f4f1bbd, v31
	s_delay_alu instid0(VALU_DEP_2) | instskip(NEXT) | instid1(VALU_DEP_2)
	v_fma_f32 v15, 0x3f167918, v31, -v6
	v_fma_f32 v27, 0xbf167918, v11, -v10
	v_dual_add_f32 v11, v25, v14 :: v_dual_add_f32 v10, v36, v23
	v_sub_f32_e32 v14, v25, v14
	s_delay_alu instid0(VALU_DEP_4)
	v_sub_f32_e32 v16, v21, v15
	v_add_f32_e32 v5, v21, v15
	v_add_f32_e32 v6, v26, v27
	v_sub_f32_e32 v21, v36, v23
	v_sub_f32_e32 v15, v28, v24
	;; [unrolled: 1-line block ×3, first 2 shown]
	ds_store_b128 v104, v[1:4]
	ds_store_b128 v104, v[9:12] offset:16
	ds_store_b128 v104, v[5:8] offset:32
	;; [unrolled: 1-line block ×4, first 2 shown]
	global_wb scope:SCOPE_SE
	s_wait_dscnt 0x0
	s_barrier_signal -1
	s_barrier_wait -1
	global_inv scope:SCOPE_SE
	ds_load_2addr_b64 v[18:21], v102 offset1:27
	ds_load_2addr_b64 v[22:25], v102 offset0:54 offset1:90
	ds_load_2addr_b64 v[26:29], v102 offset0:180 offset1:207
	ds_load_2addr_b64 v[30:33], v102 offset0:117 offset1:144
	ds_load_b64 v[38:39], v102 offset:1872
                                        ; implicit-def: $vgpr36
	s_and_saveexec_b32 s0, vcc_lo
	s_cbranch_execz .LBB0_3
; %bb.2:
	ds_load_2addr_b64 v[34:37], v102 offset0:81 offset1:171
	ds_load_b64 v[40:41], v102 offset:2088
	s_wait_dscnt 0x1
	v_dual_mov_b32 v16, v34 :: v_dual_mov_b32 v17, v35
.LBB0_3:
	s_wait_alu 0xfffe
	s_or_b32 exec_lo, exec_lo, s0
	v_and_b32_e32 v0, 0xff, v101
	v_add_co_u32 v95, s0, v101, 27
	s_wait_alu 0xf1ff
	v_add_co_ci_u32_e64 v96, null, 0, 0, s0
	s_delay_alu instid0(VALU_DEP_3) | instskip(NEXT) | instid1(VALU_DEP_3)
	v_mul_lo_u16 v0, 0xcd, v0
	v_and_b32_e32 v1, 0xff, v95
	v_add_co_u32 v93, s0, v101, 54
	s_wait_alu 0xf1ff
	v_add_co_ci_u32_e64 v94, null, 0, 0, s0
	v_lshrrev_b16 v42, 11, v0
	v_mul_lo_u16 v0, 0xcd, v1
	v_and_b32_e32 v34, 0xff, v93
	v_add_co_u32 v113, s0, 0x51, v101
	s_delay_alu instid0(VALU_DEP_4) | instskip(NEXT) | instid1(VALU_DEP_4)
	v_mul_lo_u16 v1, v42, 10
	v_lshrrev_b16 v43, 11, v0
	s_delay_alu instid0(VALU_DEP_4)
	v_mul_lo_u16 v2, 0xcd, v34
	s_wait_alu 0xf1ff
	v_add_co_ci_u32_e64 v114, null, 0, 0, s0
	v_sub_nc_u16 v44, v101, v1
	v_mul_lo_u16 v0, v43, 10
	v_lshrrev_b16 v45, 11, v2
	v_mul_lo_u16 v43, v43, 30
	s_delay_alu instid0(VALU_DEP_4) | instskip(NEXT) | instid1(VALU_DEP_4)
	v_lshlrev_b16 v1, 1, v44
	v_sub_nc_u16 v0, v95, v0
	s_delay_alu instid0(VALU_DEP_4) | instskip(NEXT) | instid1(VALU_DEP_4)
	v_mul_lo_u16 v3, v45, 10
	v_and_b32_e32 v43, 0xfe, v43
	v_mad_u16 v42, v42, 30, v44
	v_and_b32_e32 v1, 0xfe, v1
	v_and_b32_e32 v46, 0xff, v0
	v_sub_nc_u16 v3, v93, v3
	s_delay_alu instid0(VALU_DEP_3) | instskip(NEXT) | instid1(VALU_DEP_3)
	v_lshlrev_b32_e32 v0, 3, v1
	v_add_nc_u32_e32 v43, v43, v46
	global_load_b128 v[12:15], v0, s[10:11]
	v_and_b32_e32 v35, 0xff, v113
	v_lshl_add_u32 v108, v43, 3, v103
	s_delay_alu instid0(VALU_DEP_2) | instskip(NEXT) | instid1(VALU_DEP_1)
	v_mul_lo_u16 v2, 0xcd, v35
	v_lshrrev_b16 v2, 11, v2
	s_delay_alu instid0(VALU_DEP_1) | instskip(SKIP_1) | instid1(VALU_DEP_2)
	v_mul_lo_u16 v1, v2, 10
	v_lshlrev_b32_e32 v2, 4, v46
	v_sub_nc_u16 v52, v113, v1
	global_load_b128 v[8:11], v2, s[10:11]
	v_and_b32_e32 v47, 0xff, v3
	v_lshlrev_b16 v1, 1, v52
	s_wait_loadcnt_dscnt 0x103
	v_dual_mul_f32 v43, v24, v13 :: v_dual_and_b32 v110, 0xff, v52
	s_wait_loadcnt_dscnt 0x1
	s_delay_alu instid0(VALU_DEP_1)
	v_dual_fmac_f32 v43, v25, v12 :: v_dual_mul_f32 v46, v31, v9
	v_lshlrev_b32_e32 v0, 4, v47
	v_mul_f32_e32 v49, v28, v11
	v_mul_f32_e32 v48, v29, v11
	global_load_b128 v[4:7], v0, s[10:11]
	v_and_b32_e32 v0, 0xfe, v1
	v_and_b32_e32 v45, 0xffff, v45
	s_wait_loadcnt_dscnt 0x0
	v_dual_fmac_f32 v49, v29, v10 :: v_dual_mul_f32 v54, v38, v7
	s_delay_alu instid0(VALU_DEP_2) | instskip(SKIP_3) | instid1(VALU_DEP_3)
	v_mul_u32_u24_e32 v44, 30, v45
	v_dual_mul_f32 v45, v26, v15 :: v_dual_lshlrev_b32 v0, 3, v0
	v_mul_f32_e32 v50, v33, v5
	v_mul_f32_e32 v51, v32, v5
	v_dual_fmac_f32 v45, v27, v14 :: v_dual_add_nc_u32 v44, v44, v47
	global_load_b128 v[0:3], v0, s[10:11]
	v_dual_mul_f32 v47, v30, v9 :: v_dual_and_b32 v42, 0xff, v42
	v_lshl_add_u32 v107, v44, 3, v103
	v_mul_f32_e32 v44, v27, v15
	v_mul_f32_e32 v53, v39, v7
	s_delay_alu instid0(VALU_DEP_4)
	v_fmac_f32_e32 v47, v31, v8
	v_lshl_add_u32 v109, v42, 3, v103
	v_mul_f32_e32 v42, v25, v13
	v_fma_f32 v25, v26, v14, -v44
	v_fma_f32 v26, v30, v8, -v46
	;; [unrolled: 1-line block ×5, first 2 shown]
	v_fmac_f32_e32 v51, v33, v4
	v_fma_f32 v29, v38, v6, -v53
	v_add_f32_e32 v42, v20, v26
	v_sub_f32_e32 v48, v26, v27
	global_wb scope:SCOPE_SE
	s_wait_loadcnt 0x0
	s_barrier_signal -1
	v_add_f32_e32 v53, v28, v29
	s_barrier_wait -1
	global_inv scope:SCOPE_SE
	v_dual_sub_f32 v57, v28, v29 :: v_dual_add_f32 v46, v21, v47
	v_add_f32_e32 v33, v24, v25
	v_mul_f32_e32 v30, v37, v1
	v_dual_mul_f32 v31, v36, v1 :: v_dual_mul_f32 v32, v41, v3
	v_mul_f32_e32 v38, v40, v3
	v_fmac_f32_e32 v54, v39, v6
	s_delay_alu instid0(VALU_DEP_4) | instskip(NEXT) | instid1(VALU_DEP_4)
	v_fma_f32 v30, v36, v0, -v30
	v_fmac_f32_e32 v31, v37, v0
	v_fma_f32 v39, v40, v2, -v32
	v_fmac_f32_e32 v38, v41, v2
	v_dual_add_f32 v32, v18, v24 :: v_dual_add_f32 v37, v19, v43
	v_sub_f32_e32 v41, v24, v25
	v_sub_f32_e32 v36, v43, v45
	v_dual_add_f32 v50, v22, v28 :: v_dual_sub_f32 v55, v51, v54
	v_add_f32_e32 v56, v23, v51
	v_sub_f32_e32 v44, v47, v49
	v_add_f32_e32 v47, v47, v49
	v_dual_add_f32 v40, v43, v45 :: v_dual_add_f32 v43, v26, v27
	v_dual_add_f32 v51, v51, v54 :: v_dual_add_f32 v24, v32, v25
	;; [unrolled: 1-line block ×3, first 2 shown]
	v_add_f32_e32 v27, v46, v49
	v_add_f32_e32 v42, v30, v39
	v_dual_add_f32 v45, v17, v31 :: v_dual_add_f32 v46, v31, v38
	v_fma_f32 v18, -0.5, v33, v18
	v_fma_f32 v20, -0.5, v43, v20
	v_fmac_f32_e32 v21, -0.5, v47
	v_fma_f32 v19, -0.5, v40, v19
	v_dual_add_f32 v28, v50, v29 :: v_dual_fmac_f32 v23, -0.5, v51
	v_fma_f32 v22, -0.5, v53, v22
	v_add_f32_e32 v40, v16, v30
	v_sub_f32_e32 v43, v31, v38
	v_dual_sub_f32 v47, v30, v39 :: v_dual_fmamk_f32 v30, v36, 0x3f5db3d7, v18
	v_fmac_f32_e32 v16, -0.5, v42
	v_fmac_f32_e32 v17, -0.5, v46
	v_dual_add_f32 v29, v56, v54 :: v_dual_fmac_f32 v18, 0xbf5db3d7, v36
	v_fmamk_f32 v31, v41, 0xbf5db3d7, v19
	v_dual_fmac_f32 v19, 0x3f5db3d7, v41 :: v_dual_fmamk_f32 v32, v44, 0x3f5db3d7, v20
	v_dual_fmac_f32 v20, 0xbf5db3d7, v44 :: v_dual_fmamk_f32 v33, v48, 0xbf5db3d7, v21
	;; [unrolled: 1-line block ×4, first 2 shown]
	v_dual_fmac_f32 v23, 0x3f5db3d7, v57 :: v_dual_add_f32 v48, v40, v39
	v_dual_add_f32 v49, v45, v38 :: v_dual_fmamk_f32 v50, v43, 0x3f5db3d7, v16
	v_dual_fmac_f32 v16, 0xbf5db3d7, v43 :: v_dual_fmamk_f32 v51, v47, 0xbf5db3d7, v17
	v_fmac_f32_e32 v17, 0x3f5db3d7, v47
	ds_store_2addr_b64 v109, v[24:25], v[30:31] offset1:10
	ds_store_b64 v109, v[18:19] offset:160
	ds_store_2addr_b64 v108, v[26:27], v[32:33] offset1:10
	ds_store_b64 v108, v[20:21] offset:160
	;; [unrolled: 2-line block ×3, first 2 shown]
	s_and_saveexec_b32 s0, vcc_lo
	s_cbranch_execz .LBB0_5
; %bb.4:
	v_lshl_add_u32 v18, v110, 3, v103
	ds_store_2addr_b64 v18, v[48:49], v[50:51] offset0:240 offset1:250
	ds_store_b64 v18, v[16:17] offset:2080
.LBB0_5:
	s_wait_alu 0xfffe
	s_or_b32 exec_lo, exec_lo, s0
	global_wb scope:SCOPE_SE
	s_wait_dscnt 0x0
	s_barrier_signal -1
	s_barrier_wait -1
	global_inv scope:SCOPE_SE
	ds_load_2addr_b64 v[40:43], v102 offset1:27
	ds_load_2addr_b64 v[36:39], v102 offset0:54 offset1:90
	ds_load_2addr_b64 v[52:55], v102 offset0:180 offset1:207
	;; [unrolled: 1-line block ×3, first 2 shown]
	ds_load_b64 v[18:19], v102 offset:1872
	s_and_saveexec_b32 s0, vcc_lo
	s_cbranch_execz .LBB0_7
; %bb.6:
	ds_load_2addr_b64 v[48:51], v102 offset0:81 offset1:171
	ds_load_b64 v[16:17], v102 offset:2088
.LBB0_7:
	s_wait_alu 0xfffe
	s_or_b32 exec_lo, exec_lo, s0
	v_lshlrev_b32_e32 v58, 4, v101
	v_add_co_u32 v24, s0, v101, -3
	s_wait_alu 0xf1ff
	v_add_co_ci_u32_e64 v25, null, 0, -1, s0
	global_load_b128 v[20:23], v58, s[10:11] offset:160
	v_cmp_gt_u16_e64 s0, 3, v101
	v_mul_lo_u16 v26, 0x89, v35
	s_wait_alu 0xf1ff
	s_delay_alu instid0(VALU_DEP_2) | instskip(SKIP_3) | instid1(VALU_DEP_3)
	v_cndmask_b32_e64 v57, v25, v96, s0
	v_mul_lo_u16 v25, 0x89, v34
	v_cndmask_b32_e64 v56, v24, v95, s0
	v_lshrrev_b16 v26, 12, v26
	v_lshrrev_b16 v59, 12, v25
	s_delay_alu instid0(VALU_DEP_3) | instskip(NEXT) | instid1(VALU_DEP_3)
	v_lshlrev_b64_e32 v[24:25], 4, v[56:57]
	v_mul_lo_u16 v26, v26, 30
	s_delay_alu instid0(VALU_DEP_3) | instskip(NEXT) | instid1(VALU_DEP_3)
	v_mul_lo_u16 v27, v59, 30
	v_add_co_u32 v24, s0, s10, v24
	s_wait_alu 0xf1ff
	s_delay_alu instid0(VALU_DEP_4)
	v_add_co_ci_u32_e64 v25, s0, s11, v25, s0
	v_cmp_lt_u16_e64 s0, 2, v101
	v_sub_nc_u16 v27, v93, v27
	global_load_b128 v[32:35], v[24:25], off offset:160
	v_and_b32_e32 v59, 0xffff, v59
	s_wait_alu 0xf1ff
	v_cndmask_b32_e64 v60, 0, 0x5a, s0
	v_sub_nc_u16 v24, v113, v26
	v_and_b32_e32 v57, 0xff, v27
	v_mul_u32_u24_e32 v59, 0x5a, v59
	s_delay_alu instid0(VALU_DEP_4) | instskip(NEXT) | instid1(VALU_DEP_4)
	v_add_nc_u32_e32 v56, v56, v60
	v_and_b32_e32 v106, 0xff, v24
	s_delay_alu instid0(VALU_DEP_2)
	v_lshl_add_u32 v111, v56, 3, v103
	s_wait_loadcnt_dscnt 0x102
	v_dual_mul_f32 v59, v53, v23 :: v_dual_add_nc_u32 v56, v59, v57
	v_add_co_u32 v99, s0, s10, v58
	v_mul_f32_e32 v58, v38, v21
	v_lshlrev_b32_e32 v24, 4, v57
	v_mul_f32_e32 v57, v39, v21
	v_dual_mul_f32 v60, v52, v23 :: v_dual_lshlrev_b32 v25, 4, v106
	s_delay_alu instid0(VALU_DEP_4) | instskip(SKIP_1) | instid1(VALU_DEP_4)
	v_fmac_f32_e32 v58, v39, v20
	v_fma_f32 v39, v52, v22, -v59
	v_fma_f32 v38, v38, v20, -v57
	s_wait_alu 0xf1ff
	v_add_co_ci_u32_e64 v100, null, s11, 0, s0
	v_fmac_f32_e32 v60, v53, v22
	v_add_f32_e32 v57, v41, v58
	v_add_f32_e32 v53, v38, v39
	s_clause 0x1
	global_load_b128 v[28:31], v24, s[10:11] offset:160
	global_load_b128 v[24:27], v25, s[10:11] offset:160
	v_sub_f32_e32 v59, v38, v39
	v_lshl_add_u32 v112, v56, 3, v103
	global_wb scope:SCOPE_SE
	s_wait_loadcnt_dscnt 0x0
	s_barrier_signal -1
	s_barrier_wait -1
	global_inv scope:SCOPE_SE
	v_dual_mul_f32 v61, v54, v35 :: v_dual_add_f32 v52, v40, v38
	v_sub_f32_e32 v56, v58, v60
	v_add_f32_e32 v58, v58, v60
	v_fma_f32 v40, -0.5, v53, v40
	s_delay_alu instid0(VALU_DEP_4) | instskip(SKIP_1) | instid1(VALU_DEP_4)
	v_dual_fmac_f32 v61, v55, v34 :: v_dual_add_f32 v38, v52, v39
	v_add_f32_e32 v39, v57, v60
	v_fma_f32 v41, -0.5, v58, v41
	v_mul_f32_e32 v57, v45, v33
	v_mul_f32_e32 v58, v44, v33
	v_mul_f32_e32 v60, v55, v35
	v_fmamk_f32 v52, v56, 0x3f5db3d7, v40
	v_dual_fmac_f32 v40, 0xbf5db3d7, v56 :: v_dual_fmamk_f32 v53, v59, 0xbf5db3d7, v41
	v_fmac_f32_e32 v41, 0x3f5db3d7, v59
	v_fma_f32 v44, v44, v32, -v57
	v_dual_fmac_f32 v58, v45, v32 :: v_dual_mul_f32 v55, v46, v29
	v_mul_f32_e32 v63, v16, v27
	v_fma_f32 v45, v54, v34, -v60
	v_mul_f32_e32 v54, v47, v29
	v_mul_f32_e32 v56, v19, v31
	;; [unrolled: 1-line block ×5, first 2 shown]
	v_dual_mul_f32 v62, v17, v27 :: v_dual_fmac_f32 v55, v47, v28
	ds_store_2addr_b64 v102, v[38:39], v[52:53] offset1:30
	ds_store_b64 v102, v[40:41] offset:480
	v_dual_add_f32 v38, v42, v44 :: v_dual_fmac_f32 v57, v19, v30
	v_add_f32_e32 v39, v44, v45
	v_add_f32_e32 v41, v43, v58
	v_fma_f32 v47, v18, v30, -v56
	v_fma_f32 v18, v50, v24, -v59
	v_fmac_f32_e32 v60, v51, v24
	v_fma_f32 v50, v16, v26, -v62
	v_fmac_f32_e32 v63, v17, v26
	v_add_f32_e32 v17, v41, v61
	v_fma_f32 v46, v46, v28, -v54
	v_add_f32_e32 v52, v58, v61
	v_sub_f32_e32 v44, v44, v45
	v_add_f32_e32 v16, v38, v45
	v_fma_f32 v42, -0.5, v39, v42
	v_dual_add_f32 v38, v36, v46 :: v_dual_sub_f32 v41, v55, v57
	v_add_f32_e32 v39, v46, v47
	v_dual_add_f32 v45, v37, v55 :: v_dual_sub_f32 v40, v58, v61
	v_fmac_f32_e32 v43, -0.5, v52
	v_dual_add_f32 v51, v55, v57 :: v_dual_sub_f32 v46, v46, v47
	v_dual_add_f32 v53, v18, v50 :: v_dual_add_f32 v54, v49, v60
	v_add_f32_e32 v56, v60, v63
	v_add_f32_e32 v52, v48, v18
	v_dual_sub_f32 v55, v60, v63 :: v_dual_sub_f32 v58, v18, v50
	v_fmamk_f32 v19, v44, 0xbf5db3d7, v43
	v_dual_fmamk_f32 v18, v40, 0x3f5db3d7, v42 :: v_dual_fmac_f32 v37, -0.5, v51
	v_fma_f32 v36, -0.5, v39, v36
	v_dual_add_f32 v39, v45, v57 :: v_dual_add_f32 v38, v38, v47
	v_dual_fmac_f32 v49, -0.5, v56 :: v_dual_fmac_f32 v48, -0.5, v53
	v_dual_fmac_f32 v42, 0xbf5db3d7, v40 :: v_dual_add_f32 v53, v54, v63
	v_dual_fmac_f32 v43, 0x3f5db3d7, v44 :: v_dual_add_f32 v52, v52, v50
	v_fmamk_f32 v40, v41, 0x3f5db3d7, v36
	v_dual_fmac_f32 v36, 0xbf5db3d7, v41 :: v_dual_fmamk_f32 v41, v46, 0xbf5db3d7, v37
	v_dual_fmac_f32 v37, 0x3f5db3d7, v46 :: v_dual_fmamk_f32 v54, v55, 0x3f5db3d7, v48
	;; [unrolled: 1-line block ×3, first 2 shown]
	v_fmac_f32_e32 v49, 0x3f5db3d7, v58
	ds_store_2addr_b64 v111, v[16:17], v[18:19] offset1:30
	ds_store_b64 v111, v[42:43] offset:480
	ds_store_2addr_b64 v112, v[38:39], v[40:41] offset1:30
	ds_store_b64 v112, v[36:37] offset:480
	s_and_saveexec_b32 s0, vcc_lo
	s_cbranch_execz .LBB0_9
; %bb.8:
	v_lshl_add_u32 v16, v106, 3, v103
	ds_store_2addr_b64 v16, v[52:53], v[54:55] offset0:180 offset1:210
	ds_store_b64 v16, v[48:49] offset:1920
.LBB0_9:
	s_wait_alu 0xfffe
	s_or_b32 exec_lo, exec_lo, s0
	global_wb scope:SCOPE_SE
	s_wait_dscnt 0x0
	s_barrier_signal -1
	s_barrier_wait -1
	global_inv scope:SCOPE_SE
	ds_load_2addr_b64 v[60:63], v102 offset1:27
	ds_load_2addr_b64 v[56:59], v102 offset0:54 offset1:90
	ds_load_2addr_b64 v[64:67], v102 offset0:180 offset1:207
	;; [unrolled: 1-line block ×3, first 2 shown]
	ds_load_b64 v[50:51], v102 offset:1872
	v_add_co_u32 v97, s0, s8, v105
	s_wait_alu 0xf1ff
	v_add_co_ci_u32_e64 v98, null, s9, 0, s0
	s_and_saveexec_b32 s0, vcc_lo
	s_cbranch_execz .LBB0_11
; %bb.10:
	ds_load_2addr_b64 v[52:55], v102 offset0:81 offset1:171
	ds_load_b64 v[48:49], v102 offset:2088
.LBB0_11:
	s_wait_alu 0xfffe
	s_or_b32 exec_lo, exec_lo, s0
	v_lshlrev_b64_e32 v[16:17], 4, v[95:96]
	v_lshlrev_b64_e32 v[18:19], 4, v[93:94]
	v_add_co_u32 v93, s0, v101, -9
	s_wait_alu 0xf1ff
	v_add_co_ci_u32_e64 v94, null, 0, -1, s0
	s_delay_alu instid0(VALU_DEP_4)
	v_add_co_u32 v16, s0, s10, v16
	s_wait_alu 0xf1ff
	v_add_co_ci_u32_e64 v17, s0, s11, v17, s0
	v_add_co_u32 v18, s0, s10, v18
	s_wait_alu 0xf1ff
	v_add_co_ci_u32_e64 v19, s0, s11, v19, s0
	s_clause 0x2
	global_load_b128 v[36:39], v[99:100], off offset:640
	global_load_b128 v[44:47], v[16:17], off offset:640
	;; [unrolled: 1-line block ×3, first 2 shown]
	v_dual_cndmask_b32 v17, v94, v114 :: v_dual_cndmask_b32 v16, v93, v113
	s_delay_alu instid0(VALU_DEP_1) | instskip(NEXT) | instid1(VALU_DEP_1)
	v_lshlrev_b64_e32 v[16:17], 4, v[16:17]
	v_add_co_u32 v16, s0, s10, v16
	s_wait_alu 0xf1ff
	s_delay_alu instid0(VALU_DEP_2)
	v_add_co_ci_u32_e64 v17, s0, s11, v17, s0
	global_load_b128 v[16:19], v[16:17], off offset:640
	s_wait_loadcnt_dscnt 0x302
	v_dual_mul_f32 v93, v59, v37 :: v_dual_mul_f32 v96, v64, v39
	v_dual_mul_f32 v94, v58, v37 :: v_dual_mul_f32 v95, v65, v39
	s_wait_loadcnt_dscnt 0x201
	v_mul_f32_e32 v113, v68, v45
	s_delay_alu instid0(VALU_DEP_3)
	v_fma_f32 v58, v58, v36, -v93
	v_fmac_f32_e32 v96, v65, v38
	v_fmac_f32_e32 v94, v59, v36
	v_fma_f32 v59, v64, v38, -v95
	v_dual_mul_f32 v100, v69, v45 :: v_dual_mul_f32 v115, v66, v47
	s_wait_loadcnt 0x1
	v_dual_mul_f32 v114, v67, v47 :: v_dual_mul_f32 v117, v70, v41
	s_delay_alu instid0(VALU_DEP_3)
	v_dual_add_f32 v65, v58, v59 :: v_dual_add_f32 v64, v60, v58
	v_sub_f32_e32 v95, v94, v96
	v_dual_add_f32 v99, v61, v94 :: v_dual_add_f32 v94, v94, v96
	v_sub_f32_e32 v58, v58, v59
	s_wait_dscnt 0x0
	v_dual_mul_f32 v116, v71, v41 :: v_dual_mul_f32 v119, v50, v43
	v_dual_mul_f32 v118, v51, v43 :: v_dual_fmac_f32 v113, v69, v44
	v_fma_f32 v60, -0.5, v65, v60
	v_fma_f32 v61, -0.5, v94, v61
	v_dual_add_f32 v64, v64, v59 :: v_dual_fmac_f32 v115, v67, v46
	v_add_f32_e32 v65, v99, v96
	v_fma_f32 v68, v68, v44, -v100
	v_fma_f32 v66, v66, v46, -v114
	v_fma_f32 v67, v70, v40, -v116
	v_fmac_f32_e32 v117, v71, v40
	v_fma_f32 v69, v50, v42, -v118
	v_fmac_f32_e32 v119, v51, v42
	v_fmamk_f32 v50, v95, 0x3f5db3d7, v60
	s_wait_loadcnt 0x0
	v_dual_fmamk_f32 v51, v58, 0xbf5db3d7, v61 :: v_dual_mul_f32 v70, v55, v17
	v_fmac_f32_e32 v61, 0x3f5db3d7, v58
	v_dual_mul_f32 v59, v54, v17 :: v_dual_sub_f32 v96, v113, v115
	v_dual_mul_f32 v71, v49, v19 :: v_dual_add_f32 v94, v62, v68
	v_mul_f32_e32 v58, v48, v19
	v_dual_fmac_f32 v60, 0xbf5db3d7, v95 :: v_dual_add_f32 v95, v68, v66
	v_dual_add_f32 v100, v113, v115 :: v_dual_add_f32 v99, v63, v113
	v_dual_sub_f32 v113, v68, v66 :: v_dual_add_f32 v114, v67, v69
	v_dual_sub_f32 v116, v117, v119 :: v_dual_fmac_f32 v59, v55, v16
	v_fma_f32 v54, v54, v16, -v70
	v_fma_f32 v55, v48, v18, -v71
	v_dual_fmac_f32 v58, v49, v18 :: v_dual_fmac_f32 v63, -0.5, v100
	v_lshl_add_u32 v93, v101, 3, v103
	v_add_f32_e32 v68, v56, v67
	v_add_f32_e32 v118, v57, v117
	v_dual_add_f32 v117, v117, v119 :: v_dual_sub_f32 v120, v67, v69
	v_fma_f32 v56, -0.5, v114, v56
	v_dual_add_f32 v48, v54, v55 :: v_dual_add_f32 v49, v59, v58
	ds_store_b64 v93, v[50:51] offset:720
	ds_store_b64 v93, v[60:61] offset:1440
	v_dual_add_f32 v60, v94, v66 :: v_dual_fmac_f32 v57, -0.5, v117
	v_fma_f32 v62, -0.5, v95, v62
	v_dual_fmamk_f32 v70, v116, 0x3f5db3d7, v56 :: v_dual_sub_f32 v95, v54, v55
	v_sub_f32_e32 v94, v59, v58
	v_fma_f32 v50, -0.5, v48, v52
	v_fma_f32 v51, -0.5, v49, v53
	v_dual_add_f32 v61, v99, v115 :: v_dual_fmac_f32 v56, 0xbf5db3d7, v116
	v_fmamk_f32 v71, v120, 0xbf5db3d7, v57
	s_delay_alu instid0(VALU_DEP_4) | instskip(NEXT) | instid1(VALU_DEP_4)
	v_dual_fmac_f32 v57, 0x3f5db3d7, v120 :: v_dual_fmamk_f32 v48, v94, 0x3f5db3d7, v50
	v_dual_fmac_f32 v50, 0xbf5db3d7, v94 :: v_dual_fmamk_f32 v49, v95, 0xbf5db3d7, v51
	v_dual_fmac_f32 v51, 0x3f5db3d7, v95 :: v_dual_add_f32 v66, v68, v69
	v_dual_add_f32 v67, v118, v119 :: v_dual_fmamk_f32 v68, v96, 0x3f5db3d7, v62
	v_dual_fmac_f32 v62, 0xbf5db3d7, v96 :: v_dual_fmamk_f32 v69, v113, 0xbf5db3d7, v63
	v_fmac_f32_e32 v63, 0x3f5db3d7, v113
	ds_store_2addr_b64 v102, v[64:65], v[60:61] offset1:27
	ds_store_b64 v93, v[68:69] offset:936
	ds_store_b64 v93, v[62:63] offset:1656
	;; [unrolled: 1-line block ×3, first 2 shown]
	ds_store_2addr_b64 v102, v[70:71], v[56:57] offset0:144 offset1:234
	s_and_saveexec_b32 s0, vcc_lo
	s_cbranch_execz .LBB0_13
; %bb.12:
	v_dual_add_f32 v53, v53, v59 :: v_dual_add_f32 v52, v52, v54
	s_delay_alu instid0(VALU_DEP_1) | instskip(NEXT) | instid1(VALU_DEP_2)
	v_dual_add_f32 v53, v53, v58 :: v_dual_add_nc_u32 v54, 0x400, v93
	v_add_f32_e32 v52, v52, v55
	ds_store_b64 v102, v[52:53] offset:648
	ds_store_2addr_b64 v54, v[48:49], v[50:51] offset0:43 offset1:133
.LBB0_13:
	s_wait_alu 0xfffe
	s_or_b32 exec_lo, exec_lo, s0
	s_add_nc_u64 s[0:1], s[8:9], 0x870
	global_wb scope:SCOPE_SE
	s_wait_dscnt 0x0
	s_barrier_signal -1
	s_barrier_wait -1
	global_inv scope:SCOPE_SE
	s_clause 0x9
	global_load_b64 v[68:69], v[97:98], off offset:2160
	global_load_b64 v[70:71], v105, s[0:1] offset:216
	global_load_b64 v[94:95], v105, s[0:1] offset:432
	;; [unrolled: 1-line block ×9, first 2 shown]
	ds_load_2addr_b64 v[52:55], v102 offset1:27
	ds_load_2addr_b64 v[56:59], v102 offset0:54 offset1:108
	ds_load_b64 v[123:124], v93 offset:648
	ds_load_2addr_b64 v[60:63], v102 offset0:135 offset1:162
	ds_load_2addr_b64 v[64:67], v102 offset0:189 offset1:216
	ds_load_b64 v[125:126], v102 offset:1944
	s_wait_loadcnt_dscnt 0x905
	v_mul_f32_e32 v105, v53, v69
	s_wait_loadcnt 0x8
	v_dual_mul_f32 v100, v52, v69 :: v_dual_mul_f32 v127, v55, v71
	s_wait_loadcnt_dscnt 0x603
	v_dual_mul_f32 v69, v54, v71 :: v_dual_mul_f32 v130, v124, v97
	v_mul_f32_e32 v129, v57, v95
	s_wait_loadcnt_dscnt 0x402
	v_dual_mul_f32 v71, v56, v95 :: v_dual_mul_f32 v132, v61, v114
	s_wait_loadcnt_dscnt 0x201
	v_dual_mul_f32 v95, v123, v97 :: v_dual_mul_f32 v134, v65, v118
	v_mul_f32_e32 v131, v59, v99
	v_dual_mul_f32 v97, v58, v99 :: v_dual_mul_f32 v128, v60, v114
	s_wait_loadcnt_dscnt 0x0
	v_dual_mul_f32 v133, v63, v116 :: v_dual_mul_f32 v136, v126, v122
	v_mul_f32_e32 v114, v62, v116
	v_dual_mul_f32 v116, v64, v118 :: v_dual_mul_f32 v135, v67, v120
	v_fmac_f32_e32 v128, v61, v113
	v_dual_mul_f32 v118, v66, v120 :: v_dual_fmac_f32 v69, v55, v70
	v_mul_f32_e32 v120, v125, v122
	v_fma_f32 v99, v52, v68, -v105
	v_dual_fmac_f32 v100, v53, v68 :: v_dual_fmac_f32 v97, v59, v98
	v_fma_f32 v68, v54, v70, -v127
	v_fma_f32 v70, v56, v94, -v129
	v_dual_fmac_f32 v71, v57, v94 :: v_dual_fmac_f32 v114, v63, v115
	v_fma_f32 v94, v123, v96, -v130
	v_dual_fmac_f32 v95, v124, v96 :: v_dual_fmac_f32 v116, v65, v117
	v_fma_f32 v96, v58, v98, -v131
	v_fma_f32 v127, v60, v113, -v132
	;; [unrolled: 1-line block ×5, first 2 shown]
	v_fmac_f32_e32 v118, v67, v119
	v_fma_f32 v119, v125, v121, -v136
	v_fmac_f32_e32 v120, v126, v121
	ds_store_2addr_b64 v102, v[99:100], v[68:69] offset1:27
	ds_store_2addr_b64 v102, v[70:71], v[96:97] offset0:54 offset1:108
	ds_store_2addr_b64 v102, v[127:128], v[113:114] offset0:135 offset1:162
	;; [unrolled: 1-line block ×3, first 2 shown]
	ds_store_b64 v93, v[94:95] offset:648
	ds_store_b64 v102, v[119:120] offset:1944
	global_wb scope:SCOPE_SE
	s_wait_dscnt 0x0
	s_barrier_signal -1
	s_barrier_wait -1
	global_inv scope:SCOPE_SE
	ds_load_2addr_b64 v[52:55], v102 offset1:27
	ds_load_2addr_b64 v[56:59], v102 offset0:54 offset1:108
	ds_load_2addr_b64 v[60:63], v102 offset0:135 offset1:162
	;; [unrolled: 1-line block ×3, first 2 shown]
	ds_load_b64 v[68:69], v93 offset:648
	ds_load_b64 v[70:71], v102 offset:1944
	global_wb scope:SCOPE_SE
	s_wait_dscnt 0x0
	s_barrier_signal -1
	s_barrier_wait -1
	global_inv scope:SCOPE_SE
	v_dual_add_f32 v94, v52, v56 :: v_dual_add_f32 v95, v58, v62
	v_dual_sub_f32 v99, v66, v62 :: v_dual_sub_f32 v96, v57, v67
	v_dual_sub_f32 v105, v58, v56 :: v_dual_sub_f32 v98, v56, v58
	v_dual_add_f32 v115, v59, v63 :: v_dual_add_f32 v100, v56, v66
	v_sub_f32_e32 v117, v57, v59
	v_dual_sub_f32 v113, v62, v66 :: v_dual_add_f32 v114, v53, v57
	v_dual_sub_f32 v56, v56, v66 :: v_dual_add_f32 v119, v57, v67
	;; [unrolled: 1-line block ×3, first 2 shown]
	v_dual_add_f32 v122, v60, v64 :: v_dual_sub_f32 v123, v69, v71
	v_dual_sub_f32 v124, v61, v65 :: v_dual_add_f32 v127, v68, v70
	v_dual_sub_f32 v128, v60, v68 :: v_dual_add_f32 v131, v61, v65
	v_dual_add_f32 v130, v55, v69 :: v_dual_add_f32 v135, v69, v71
	v_dual_sub_f32 v97, v59, v63 :: v_dual_sub_f32 v116, v58, v62
	v_sub_f32_e32 v57, v59, v57
	v_dual_sub_f32 v120, v63, v67 :: v_dual_sub_f32 v125, v68, v60
	v_dual_sub_f32 v68, v68, v70 :: v_dual_sub_f32 v133, v69, v61
	;; [unrolled: 1-line block ×3, first 2 shown]
	v_sub_f32_e32 v134, v71, v65
	v_dual_sub_f32 v136, v65, v71 :: v_dual_add_f32 v61, v130, v61
	v_dual_add_f32 v58, v94, v58 :: v_dual_add_f32 v57, v57, v120
	v_fma_f32 v94, -0.5, v95, v52
	v_add_f32_e32 v95, v98, v99
	v_fma_f32 v52, -0.5, v100, v52
	v_dual_add_f32 v98, v105, v113 :: v_dual_add_f32 v59, v114, v59
	v_fma_f32 v99, -0.5, v115, v53
	v_fma_f32 v53, -0.5, v119, v53
	v_add_f32_e32 v60, v121, v60
	v_fma_f32 v105, -0.5, v122, v54
	v_add_f32_e32 v59, v59, v63
	v_fma_f32 v54, -0.5, v127, v54
	v_fma_f32 v115, -0.5, v131, v55
	v_dual_sub_f32 v126, v70, v64 :: v_dual_sub_f32 v129, v64, v70
	v_dual_add_f32 v100, v117, v118 :: v_dual_fmac_f32 v55, -0.5, v135
	v_dual_add_f32 v117, v133, v134 :: v_dual_fmamk_f32 v118, v96, 0xbf737871, v94
	v_dual_add_f32 v69, v69, v136 :: v_dual_add_f32 v58, v58, v62
	v_fmac_f32_e32 v94, 0x3f737871, v96
	v_dual_fmamk_f32 v119, v97, 0x3f737871, v52 :: v_dual_fmamk_f32 v120, v56, 0x3f737871, v99
	v_dual_fmac_f32 v52, 0xbf737871, v97 :: v_dual_fmac_f32 v99, 0xbf737871, v56
	v_fmamk_f32 v121, v116, 0xbf737871, v53
	v_dual_fmac_f32 v53, 0x3f737871, v116 :: v_dual_fmamk_f32 v122, v124, 0x3f737871, v54
	v_dual_add_f32 v60, v60, v64 :: v_dual_add_f32 v61, v61, v65
	v_fmac_f32_e32 v54, 0xbf737871, v124
	v_dual_fmamk_f32 v65, v68, 0x3f737871, v115 :: v_dual_add_f32 v58, v58, v66
	v_dual_add_f32 v113, v125, v126 :: v_dual_add_f32 v114, v128, v129
	s_delay_alu instid0(VALU_DEP_4)
	v_dual_fmamk_f32 v64, v123, 0xbf737871, v105 :: v_dual_add_f32 v61, v61, v71
	v_fmac_f32_e32 v105, 0x3f737871, v123
	v_dual_fmac_f32 v115, 0xbf737871, v68 :: v_dual_add_f32 v60, v60, v70
	v_fmamk_f32 v125, v132, 0xbf737871, v55
	v_dual_fmac_f32 v118, 0xbf167918, v97 :: v_dual_fmac_f32 v119, 0xbf167918, v96
	v_dual_fmac_f32 v94, 0x3f167918, v97 :: v_dual_add_f32 v59, v59, v67
	v_dual_fmac_f32 v99, 0xbf167918, v116 :: v_dual_fmac_f32 v122, 0xbf167918, v123
	v_dual_fmac_f32 v121, 0x3f167918, v56 :: v_dual_fmac_f32 v54, 0x3f167918, v123
	v_fmac_f32_e32 v65, 0x3f167918, v132
	v_dual_fmac_f32 v118, 0x3e9e377a, v95 :: v_dual_fmac_f32 v119, 0x3e9e377a, v98
	v_fmac_f32_e32 v55, 0x3f737871, v132
	;; [unrolled: 2-line block ×4, first 2 shown]
	v_add_f32_e32 v56, v58, v60
	v_fmac_f32_e32 v125, 0x3f167918, v68
	v_fmac_f32_e32 v55, 0xbf167918, v68
	v_dual_fmac_f32 v115, 0x3e9e377a, v117 :: v_dual_sub_f32 v62, v58, v60
	v_fmac_f32_e32 v64, 0xbf167918, v124
	s_delay_alu instid0(VALU_DEP_4) | instskip(NEXT) | instid1(VALU_DEP_4)
	v_dual_fmac_f32 v125, 0x3e9e377a, v69 :: v_dual_fmac_f32 v122, 0x3e9e377a, v114
	v_fmac_f32_e32 v55, 0x3e9e377a, v69
	v_mul_f32_e32 v68, 0xbf167918, v65
	v_fmac_f32_e32 v53, 0x3e9e377a, v57
	s_delay_alu instid0(VALU_DEP_4)
	v_mul_f32_e32 v69, 0xbf737871, v125
	v_mul_f32_e32 v95, 0xbf167918, v115
	v_fmac_f32_e32 v64, 0x3e9e377a, v113
	v_fmac_f32_e32 v52, 0x3f167918, v96
	v_dual_fmac_f32 v120, 0x3f167918, v116 :: v_dual_sub_f32 v63, v59, v61
	v_fmac_f32_e32 v69, 0x3e9e377a, v122
	s_delay_alu instid0(VALU_DEP_4) | instskip(NEXT) | instid1(VALU_DEP_3)
	v_fmac_f32_e32 v68, 0x3f4f1bbd, v64
	v_dual_fmac_f32 v121, 0x3e9e377a, v57 :: v_dual_fmac_f32 v120, 0x3e9e377a, v100
	v_dual_add_f32 v57, v59, v61 :: v_dual_fmac_f32 v52, 0x3e9e377a, v98
	s_delay_alu instid0(VALU_DEP_3) | instskip(SKIP_3) | instid1(VALU_DEP_3)
	v_add_f32_e32 v58, v118, v68
	v_dual_sub_f32 v68, v118, v68 :: v_dual_mul_f32 v71, 0xbf737871, v55
	v_mul_f32_e32 v97, 0x3e9e377a, v125
	v_dual_mul_f32 v55, 0xbe9e377a, v55 :: v_dual_sub_f32 v70, v119, v69
	v_fmac_f32_e32 v71, 0xbe9e377a, v54
	v_fmac_f32_e32 v105, 0x3f167918, v124
	s_delay_alu instid0(VALU_DEP_4) | instskip(SKIP_1) | instid1(VALU_DEP_4)
	v_fmac_f32_e32 v97, 0x3f737871, v122
	v_mul_f32_e32 v96, 0x3f167918, v64
	v_dual_fmac_f32 v55, 0x3f737871, v54 :: v_dual_add_f32 v66, v52, v71
	s_delay_alu instid0(VALU_DEP_4) | instskip(SKIP_1) | instid1(VALU_DEP_3)
	v_fmac_f32_e32 v105, 0x3e9e377a, v113
	v_mul_f32_e32 v98, 0xbf4f1bbd, v115
	v_dual_add_f32 v64, v119, v69 :: v_dual_add_f32 v67, v53, v55
	s_delay_alu instid0(VALU_DEP_3) | instskip(NEXT) | instid1(VALU_DEP_3)
	v_dual_sub_f32 v52, v52, v71 :: v_dual_fmac_f32 v95, 0xbf4f1bbd, v105
	v_fmac_f32_e32 v98, 0x3f167918, v105
	v_fmac_f32_e32 v96, 0x3f4f1bbd, v65
	v_add_f32_e32 v65, v121, v97
	s_delay_alu instid0(VALU_DEP_4) | instskip(NEXT) | instid1(VALU_DEP_4)
	v_dual_sub_f32 v71, v121, v97 :: v_dual_add_f32 v60, v94, v95
	v_add_f32_e32 v61, v99, v98
	s_delay_alu instid0(VALU_DEP_4)
	v_add_f32_e32 v59, v120, v96
	v_dual_sub_f32 v69, v120, v96 :: v_dual_sub_f32 v54, v94, v95
	v_sub_f32_e32 v53, v53, v55
	v_sub_f32_e32 v55, v99, v98
	ds_store_b128 v104, v[56:59]
	ds_store_b128 v104, v[64:67] offset:16
	ds_store_b128 v104, v[60:63] offset:32
	;; [unrolled: 1-line block ×4, first 2 shown]
	global_wb scope:SCOPE_SE
	s_wait_dscnt 0x0
	s_barrier_signal -1
	s_barrier_wait -1
	global_inv scope:SCOPE_SE
	ds_load_2addr_b64 v[60:63], v102 offset1:27
	ds_load_2addr_b64 v[56:59], v102 offset0:54 offset1:90
	ds_load_2addr_b64 v[68:71], v102 offset0:180 offset1:207
	ds_load_2addr_b64 v[64:67], v102 offset0:117 offset1:144
	ds_load_b64 v[52:53], v102 offset:1872
	s_and_saveexec_b32 s0, vcc_lo
	s_cbranch_execz .LBB0_15
; %bb.14:
	v_add_nc_u32_e32 v48, 0x400, v102
	ds_load_b64 v[54:55], v93 offset:648
	ds_load_2addr_b64 v[48:51], v48 offset0:43 offset1:133
.LBB0_15:
	s_wait_alu 0xfffe
	s_or_b32 exec_lo, exec_lo, s0
	s_wait_dscnt 0x2
	v_dual_mul_f32 v94, v13, v59 :: v_dual_mul_f32 v95, v15, v69
	v_mul_f32_e32 v15, v15, v68
	global_wb scope:SCOPE_SE
	s_wait_dscnt 0x0
	s_barrier_signal -1
	v_dual_fmac_f32 v94, v12, v58 :: v_dual_fmac_f32 v95, v14, v68
	v_mul_f32_e32 v13, v13, v58
	v_mul_f32_e32 v58, v5, v67
	v_fma_f32 v14, v14, v69, -v15
	s_barrier_wait -1
	global_inv scope:SCOPE_SE
	v_fma_f32 v12, v12, v59, -v13
	v_mul_f32_e32 v59, v7, v53
	v_mul_f32_e32 v7, v7, v52
	v_dual_mul_f32 v13, v9, v65 :: v_dual_fmac_f32 v58, v4, v66
	v_mul_f32_e32 v9, v9, v64
	s_delay_alu instid0(VALU_DEP_4) | instskip(NEXT) | instid1(VALU_DEP_4)
	v_fmac_f32_e32 v59, v6, v52
	v_fma_f32 v52, v6, v53, -v7
	v_mul_f32_e32 v53, v3, v51
	v_mul_f32_e32 v3, v3, v50
	v_add_f32_e32 v7, v61, v12
	s_delay_alu instid0(VALU_DEP_3) | instskip(NEXT) | instid1(VALU_DEP_3)
	v_fmac_f32_e32 v53, v2, v50
	v_fma_f32 v3, v2, v51, -v3
	v_add_f32_e32 v2, v12, v14
	v_fma_f32 v9, v8, v65, -v9
	v_mul_f32_e32 v65, v1, v49
	v_mul_f32_e32 v1, v1, v48
	s_delay_alu instid0(VALU_DEP_2) | instskip(NEXT) | instid1(VALU_DEP_2)
	v_fmac_f32_e32 v65, v0, v48
	v_fma_f32 v48, v0, v49, -v1
	v_dual_add_f32 v0, v94, v95 :: v_dual_add_f32 v1, v60, v94
	v_fmac_f32_e32 v13, v8, v64
	v_mul_f32_e32 v5, v5, v66
	s_delay_alu instid0(VALU_DEP_3) | instskip(NEXT) | instid1(VALU_DEP_2)
	v_fma_f32 v0, -0.5, v0, v60
	v_fma_f32 v64, v4, v67, -v5
	v_sub_f32_e32 v5, v12, v14
	v_mul_f32_e32 v15, v11, v71
	v_dual_mul_f32 v11, v11, v70 :: v_dual_add_f32 v4, v1, v95
	v_fma_f32 v1, -0.5, v2, v61
	v_sub_f32_e32 v2, v94, v95
	s_delay_alu instid0(VALU_DEP_4) | instskip(SKIP_3) | instid1(VALU_DEP_4)
	v_dual_fmamk_f32 v6, v5, 0xbf5db3d7, v0 :: v_dual_fmac_f32 v15, v10, v70
	v_fmac_f32_e32 v0, 0x3f5db3d7, v5
	v_fma_f32 v11, v10, v71, -v11
	v_add_f32_e32 v5, v7, v14
	v_dual_fmamk_f32 v7, v2, 0x3f5db3d7, v1 :: v_dual_add_f32 v8, v13, v15
	s_delay_alu instid0(VALU_DEP_3) | instskip(SKIP_2) | instid1(VALU_DEP_4)
	v_dual_fmac_f32 v1, 0xbf5db3d7, v2 :: v_dual_add_f32 v2, v9, v11
	v_add_f32_e32 v10, v62, v13
	v_sub_f32_e32 v12, v9, v11
	v_fma_f32 v62, -0.5, v8, v62
	v_add_f32_e32 v9, v63, v9
	v_dual_fmac_f32 v63, -0.5, v2 :: v_dual_sub_f32 v2, v13, v15
	v_add_f32_e32 v8, v10, v15
	s_delay_alu instid0(VALU_DEP_4) | instskip(NEXT) | instid1(VALU_DEP_4)
	v_fmamk_f32 v10, v12, 0xbf5db3d7, v62
	v_dual_fmac_f32 v62, 0x3f5db3d7, v12 :: v_dual_add_f32 v9, v9, v11
	v_add_f32_e32 v12, v58, v59
	v_fmamk_f32 v11, v2, 0x3f5db3d7, v63
	v_dual_fmac_f32 v63, 0xbf5db3d7, v2 :: v_dual_add_f32 v2, v64, v52
	v_dual_add_f32 v50, v54, v65 :: v_dual_add_f32 v13, v56, v58
	s_delay_alu instid0(VALU_DEP_4)
	v_fma_f32 v56, -0.5, v12, v56
	v_sub_f32_e32 v15, v64, v52
	v_add_f32_e32 v49, v65, v53
	v_sub_f32_e32 v51, v65, v53
	v_add_f32_e32 v12, v13, v59
	v_add_f32_e32 v13, v57, v64
	v_dual_fmac_f32 v57, -0.5, v2 :: v_dual_sub_f32 v2, v58, v59
	v_fmamk_f32 v14, v15, 0xbf5db3d7, v56
	v_fmac_f32_e32 v56, 0x3f5db3d7, v15
	v_dual_fmac_f32 v54, -0.5, v49 :: v_dual_sub_f32 v49, v48, v3
	s_delay_alu instid0(VALU_DEP_4) | instskip(SKIP_4) | instid1(VALU_DEP_4)
	v_fmamk_f32 v15, v2, 0x3f5db3d7, v57
	v_dual_fmac_f32 v57, 0xbf5db3d7, v2 :: v_dual_add_f32 v2, v48, v3
	v_add_f32_e32 v48, v55, v48
	v_add_f32_e32 v13, v13, v52
	v_fmamk_f32 v52, v49, 0xbf5db3d7, v54
	v_dual_fmac_f32 v54, 0x3f5db3d7, v49 :: v_dual_fmac_f32 v55, -0.5, v2
	s_delay_alu instid0(VALU_DEP_4)
	v_dual_add_f32 v2, v50, v53 :: v_dual_add_f32 v3, v48, v3
	ds_store_2addr_b64 v109, v[4:5], v[6:7] offset1:10
	ds_store_b64 v109, v[0:1] offset:160
	ds_store_2addr_b64 v108, v[8:9], v[10:11] offset1:10
	ds_store_b64 v108, v[62:63] offset:160
	;; [unrolled: 2-line block ×3, first 2 shown]
	v_fmamk_f32 v53, v51, 0x3f5db3d7, v55
	v_fmac_f32_e32 v55, 0xbf5db3d7, v51
	s_and_saveexec_b32 s0, vcc_lo
	s_cbranch_execz .LBB0_17
; %bb.16:
	v_lshl_add_u32 v0, v110, 3, v103
	ds_store_2addr_b64 v0, v[2:3], v[52:53] offset0:240 offset1:250
	ds_store_b64 v0, v[54:55] offset:2080
.LBB0_17:
	s_wait_alu 0xfffe
	s_or_b32 exec_lo, exec_lo, s0
	global_wb scope:SCOPE_SE
	s_wait_dscnt 0x0
	s_barrier_signal -1
	s_barrier_wait -1
	global_inv scope:SCOPE_SE
	ds_load_2addr_b64 v[8:11], v102 offset1:27
	ds_load_2addr_b64 v[4:7], v102 offset0:54 offset1:90
	ds_load_2addr_b64 v[48:51], v102 offset0:180 offset1:207
	;; [unrolled: 1-line block ×3, first 2 shown]
	ds_load_b64 v[0:1], v102 offset:1872
	s_and_saveexec_b32 s0, vcc_lo
	s_cbranch_execz .LBB0_19
; %bb.18:
	v_add_nc_u32_e32 v52, 0x400, v102
	ds_load_b64 v[2:3], v93 offset:648
	ds_load_2addr_b64 v[52:55], v52 offset0:43 offset1:133
.LBB0_19:
	s_wait_alu 0xfffe
	s_or_b32 exec_lo, exec_lo, s0
	s_wait_dscnt 0x2
	v_dual_mul_f32 v56, v21, v7 :: v_dual_mul_f32 v57, v23, v49
	v_mul_f32_e32 v21, v21, v6
	v_mul_f32_e32 v23, v23, v48
	global_wb scope:SCOPE_SE
	s_wait_dscnt 0x0
	v_dual_fmac_f32 v56, v20, v6 :: v_dual_fmac_f32 v57, v22, v48
	v_fma_f32 v7, v20, v7, -v21
	v_mul_f32_e32 v20, v33, v13
	v_dual_mul_f32 v6, v33, v12 :: v_dual_mul_f32 v33, v31, v1
	v_fma_f32 v21, v22, v49, -v23
	v_mul_f32_e32 v22, v35, v51
	s_delay_alu instid0(VALU_DEP_4) | instskip(NEXT) | instid1(VALU_DEP_4)
	v_fmac_f32_e32 v20, v32, v12
	v_dual_mul_f32 v12, v35, v50 :: v_dual_fmac_f32 v33, v30, v0
	v_fma_f32 v23, v32, v13, -v6
	v_mul_f32_e32 v32, v29, v15
	v_fmac_f32_e32 v22, v34, v50
	v_dual_mul_f32 v6, v29, v14 :: v_dual_add_f32 v13, v8, v56
	v_fma_f32 v29, v34, v51, -v12
	v_dual_mul_f32 v12, v31, v0 :: v_dual_mul_f32 v31, v25, v53
	v_dual_mul_f32 v0, v25, v52 :: v_dual_mul_f32 v25, v27, v55
	s_barrier_signal -1
	s_barrier_wait -1
	s_delay_alu instid0(VALU_DEP_2)
	v_fmac_f32_e32 v31, v24, v52
	v_fmac_f32_e32 v32, v28, v14
	v_fma_f32 v28, v28, v15, -v6
	v_sub_f32_e32 v15, v7, v21
	v_mul_f32_e32 v6, v27, v54
	v_fmac_f32_e32 v25, v26, v54
	v_fma_f32 v1, v30, v1, -v12
	v_add_f32_e32 v12, v56, v57
	v_add_f32_e32 v14, v7, v21
	v_fma_f32 v30, v26, v55, -v6
	global_inv scope:SCOPE_SE
	v_add_f32_e32 v26, v28, v1
	v_fma_f32 v6, -0.5, v12, v8
	v_add_f32_e32 v8, v13, v57
	v_add_f32_e32 v13, v9, v7
	v_fma_f32 v7, -0.5, v14, v9
	v_sub_f32_e32 v14, v56, v57
	v_fmamk_f32 v12, v15, 0xbf5db3d7, v6
	s_delay_alu instid0(VALU_DEP_4)
	v_dual_fmac_f32 v6, 0x3f5db3d7, v15 :: v_dual_add_f32 v9, v13, v21
	v_add_f32_e32 v15, v20, v22
	v_add_f32_e32 v21, v10, v20
	v_fmamk_f32 v13, v14, 0x3f5db3d7, v7
	v_fmac_f32_e32 v7, 0xbf5db3d7, v14
	v_fma_f32 v0, v24, v53, -v0
	v_fma_f32 v10, -0.5, v15, v10
	v_dual_sub_f32 v15, v23, v29 :: v_dual_add_f32 v14, v21, v22
	v_dual_add_f32 v21, v11, v23 :: v_dual_sub_f32 v22, v20, v22
	s_delay_alu instid0(VALU_DEP_2) | instskip(NEXT) | instid1(VALU_DEP_2)
	v_fmamk_f32 v20, v15, 0xbf5db3d7, v10
	v_dual_fmac_f32 v10, 0x3f5db3d7, v15 :: v_dual_add_f32 v15, v21, v29
	v_add_f32_e32 v24, v23, v29
	v_add_f32_e32 v23, v32, v33
	;; [unrolled: 1-line block ×3, first 2 shown]
	s_delay_alu instid0(VALU_DEP_3) | instskip(SKIP_1) | instid1(VALU_DEP_4)
	v_fmac_f32_e32 v11, -0.5, v24
	v_add_f32_e32 v24, v4, v32
	v_fma_f32 v4, -0.5, v23, v4
	v_sub_f32_e32 v23, v28, v1
	s_delay_alu instid0(VALU_DEP_4) | instskip(NEXT) | instid1(VALU_DEP_4)
	v_fmamk_f32 v21, v22, 0x3f5db3d7, v11
	v_dual_fmac_f32 v11, 0xbf5db3d7, v22 :: v_dual_add_f32 v22, v24, v33
	v_dual_add_f32 v24, v5, v28 :: v_dual_fmac_f32 v5, -0.5, v26
	v_sub_f32_e32 v28, v32, v33
	v_fmamk_f32 v26, v23, 0xbf5db3d7, v4
	s_delay_alu instid0(VALU_DEP_3) | instskip(SKIP_1) | instid1(VALU_DEP_4)
	v_dual_fmac_f32 v4, 0x3f5db3d7, v23 :: v_dual_add_f32 v23, v24, v1
	v_add_f32_e32 v1, v31, v25
	v_fmamk_f32 v27, v28, 0x3f5db3d7, v5
	v_dual_add_f32 v24, v0, v30 :: v_dual_fmac_f32 v5, 0xbf5db3d7, v28
	v_dual_add_f32 v28, v2, v31 :: v_dual_sub_f32 v31, v31, v25
	s_delay_alu instid0(VALU_DEP_2) | instskip(SKIP_1) | instid1(VALU_DEP_3)
	v_dual_fmac_f32 v2, -0.5, v1 :: v_dual_fmac_f32 v3, -0.5, v24
	v_sub_f32_e32 v1, v0, v30
	v_dual_add_f32 v24, v28, v25 :: v_dual_add_f32 v25, v29, v30
	ds_store_2addr_b64 v102, v[8:9], v[12:13] offset1:30
	ds_store_b64 v102, v[6:7] offset:480
	ds_store_2addr_b64 v111, v[14:15], v[20:21] offset1:30
	ds_store_b64 v111, v[10:11] offset:480
	;; [unrolled: 2-line block ×3, first 2 shown]
	v_fmamk_f32 v0, v1, 0xbf5db3d7, v2
	v_dual_fmac_f32 v2, 0x3f5db3d7, v1 :: v_dual_fmamk_f32 v1, v31, 0x3f5db3d7, v3
	v_fmac_f32_e32 v3, 0xbf5db3d7, v31
	s_and_saveexec_b32 s0, vcc_lo
	s_cbranch_execz .LBB0_21
; %bb.20:
	v_lshl_add_u32 v4, v106, 3, v103
	ds_store_2addr_b64 v4, v[24:25], v[0:1] offset0:180 offset1:210
	ds_store_b64 v4, v[2:3] offset:1920
.LBB0_21:
	s_wait_alu 0xfffe
	s_or_b32 exec_lo, exec_lo, s0
	global_wb scope:SCOPE_SE
	s_wait_dscnt 0x0
	s_barrier_signal -1
	s_barrier_wait -1
	global_inv scope:SCOPE_SE
	ds_load_2addr_b64 v[8:11], v102 offset1:27
	ds_load_2addr_b64 v[4:7], v102 offset0:54 offset1:90
	ds_load_2addr_b64 v[20:23], v102 offset0:180 offset1:207
	ds_load_2addr_b64 v[12:15], v102 offset0:117 offset1:144
	ds_load_b64 v[26:27], v102 offset:1872
	v_add_nc_u32_e32 v28, 0x1b0, v102
	s_and_saveexec_b32 s0, vcc_lo
	s_cbranch_execz .LBB0_23
; %bb.22:
	v_add_nc_u32_e32 v0, 0x400, v102
	ds_load_b64 v[24:25], v93 offset:648
	ds_load_2addr_b64 v[0:3], v0 offset0:43 offset1:133
.LBB0_23:
	s_wait_alu 0xfffe
	s_or_b32 exec_lo, exec_lo, s0
	s_wait_dscnt 0x2
	v_dual_mul_f32 v29, v37, v7 :: v_dual_mul_f32 v32, v39, v20
	v_dual_mul_f32 v30, v37, v6 :: v_dual_mul_f32 v31, v39, v21
	s_wait_dscnt 0x1
	v_mul_f32_e32 v33, v41, v15
	s_delay_alu instid0(VALU_DEP_3) | instskip(NEXT) | instid1(VALU_DEP_3)
	v_dual_fmac_f32 v29, v36, v6 :: v_dual_mul_f32 v6, v45, v12
	v_fma_f32 v7, v36, v7, -v30
	v_dual_mul_f32 v30, v45, v13 :: v_dual_fmac_f32 v31, v38, v20
	v_fma_f32 v20, v38, v21, -v32
	v_mul_f32_e32 v21, v47, v23
	v_fma_f32 v32, v44, v13, -v6
	s_delay_alu instid0(VALU_DEP_4)
	v_fmac_f32_e32 v30, v44, v12
	v_mul_f32_e32 v12, v47, v22
	v_mul_f32_e32 v6, v41, v14
	v_fmac_f32_e32 v21, v46, v22
	v_add_f32_e32 v13, v8, v29
	v_fmac_f32_e32 v33, v40, v14
	v_fma_f32 v22, v46, v23, -v12
	s_wait_dscnt 0x0
	v_mul_f32_e32 v23, v43, v27
	v_mul_f32_e32 v12, v43, v26
	v_fma_f32 v34, v40, v15, -v6
	v_add_f32_e32 v6, v29, v31
	s_delay_alu instid0(VALU_DEP_4) | instskip(NEXT) | instid1(VALU_DEP_4)
	v_dual_sub_f32 v14, v7, v20 :: v_dual_fmac_f32 v23, v42, v26
	v_fma_f32 v27, v42, v27, -v12
	v_add_f32_e32 v12, v7, v20
	s_delay_alu instid0(VALU_DEP_4)
	v_fma_f32 v6, -0.5, v6, v8
	v_sub_f32_e32 v15, v29, v31
	v_add_f32_e32 v8, v13, v31
	v_add_f32_e32 v13, v9, v7
	v_fma_f32 v7, -0.5, v12, v9
	v_fmamk_f32 v12, v14, 0xbf5db3d7, v6
	v_fmac_f32_e32 v6, 0x3f5db3d7, v14
	s_delay_alu instid0(VALU_DEP_4) | instskip(NEXT) | instid1(VALU_DEP_4)
	v_dual_add_f32 v14, v30, v21 :: v_dual_add_f32 v9, v13, v20
	v_dual_fmamk_f32 v13, v15, 0x3f5db3d7, v7 :: v_dual_add_f32 v20, v10, v30
	v_fmac_f32_e32 v7, 0xbf5db3d7, v15
	v_dual_add_f32 v15, v32, v22 :: v_dual_sub_f32 v30, v30, v21
	s_delay_alu instid0(VALU_DEP_4) | instskip(SKIP_1) | instid1(VALU_DEP_3)
	v_fma_f32 v10, -0.5, v14, v10
	v_dual_sub_f32 v26, v32, v22 :: v_dual_add_f32 v29, v11, v32
	v_dual_add_f32 v14, v20, v21 :: v_dual_fmac_f32 v11, -0.5, v15
	s_delay_alu instid0(VALU_DEP_2) | instskip(NEXT) | instid1(VALU_DEP_3)
	v_dual_add_f32 v31, v5, v34 :: v_dual_fmamk_f32 v20, v26, 0xbf5db3d7, v10
	v_add_f32_e32 v15, v29, v22
	s_delay_alu instid0(VALU_DEP_3) | instskip(SKIP_3) | instid1(VALU_DEP_3)
	v_dual_fmac_f32 v10, 0x3f5db3d7, v26 :: v_dual_fmamk_f32 v21, v30, 0x3f5db3d7, v11
	v_dual_add_f32 v22, v33, v23 :: v_dual_fmac_f32 v11, 0xbf5db3d7, v30
	v_dual_add_f32 v26, v34, v27 :: v_dual_add_f32 v29, v4, v33
	v_sub_f32_e32 v30, v34, v27
	v_fma_f32 v4, -0.5, v22, v4
	s_delay_alu instid0(VALU_DEP_3) | instskip(NEXT) | instid1(VALU_DEP_4)
	v_dual_sub_f32 v32, v33, v23 :: v_dual_fmac_f32 v5, -0.5, v26
	v_add_f32_e32 v22, v29, v23
	s_delay_alu instid0(VALU_DEP_3) | instskip(NEXT) | instid1(VALU_DEP_3)
	v_dual_add_f32 v23, v31, v27 :: v_dual_fmamk_f32 v26, v30, 0xbf5db3d7, v4
	v_dual_fmac_f32 v4, 0x3f5db3d7, v30 :: v_dual_fmamk_f32 v27, v32, 0x3f5db3d7, v5
	v_fmac_f32_e32 v5, 0xbf5db3d7, v32
	ds_store_b64 v102, v[8:9]
	ds_store_b64 v93, v[12:13] offset:720
	ds_store_b64 v93, v[6:7] offset:1440
	;; [unrolled: 1-line block ×6, first 2 shown]
	ds_store_2addr_b64 v28, v[26:27], v[4:5] offset0:90 offset1:180
	s_and_saveexec_b32 s0, vcc_lo
	s_cbranch_execz .LBB0_25
; %bb.24:
	v_dual_mul_f32 v4, v17, v0 :: v_dual_mul_f32 v5, v19, v2
	v_dual_mul_f32 v6, v17, v1 :: v_dual_mul_f32 v7, v19, v3
	s_delay_alu instid0(VALU_DEP_2) | instskip(NEXT) | instid1(VALU_DEP_3)
	v_fma_f32 v4, v16, v1, -v4
	v_fma_f32 v3, v18, v3, -v5
	s_delay_alu instid0(VALU_DEP_3) | instskip(NEXT) | instid1(VALU_DEP_2)
	v_dual_fmac_f32 v6, v16, v0 :: v_dual_fmac_f32 v7, v18, v2
	v_dual_add_f32 v5, v25, v4 :: v_dual_add_f32 v0, v4, v3
	v_sub_f32_e32 v9, v4, v3
	s_delay_alu instid0(VALU_DEP_3) | instskip(NEXT) | instid1(VALU_DEP_3)
	v_sub_f32_e32 v8, v6, v7
	v_add_f32_e32 v3, v5, v3
	s_delay_alu instid0(VALU_DEP_4) | instskip(NEXT) | instid1(VALU_DEP_1)
	v_fma_f32 v1, -0.5, v0, v25
	v_dual_add_f32 v2, v6, v7 :: v_dual_fmamk_f32 v5, v8, 0xbf5db3d7, v1
	s_delay_alu instid0(VALU_DEP_1) | instskip(SKIP_2) | instid1(VALU_DEP_3)
	v_fma_f32 v0, -0.5, v2, v24
	v_dual_add_f32 v2, v24, v6 :: v_dual_fmac_f32 v1, 0x3f5db3d7, v8
	v_add_nc_u32_e32 v6, 0x400, v93
	v_fmamk_f32 v4, v9, 0x3f5db3d7, v0
	s_delay_alu instid0(VALU_DEP_3)
	v_add_f32_e32 v2, v2, v7
	v_fmac_f32_e32 v0, 0xbf5db3d7, v9
	ds_store_b64 v93, v[2:3] offset:648
	ds_store_2addr_b64 v6, v[0:1], v[4:5] offset0:43 offset1:133
.LBB0_25:
	s_wait_alu 0xfffe
	s_or_b32 exec_lo, exec_lo, s0
	global_wb scope:SCOPE_SE
	s_wait_dscnt 0x0
	s_barrier_signal -1
	s_barrier_wait -1
	global_inv scope:SCOPE_SE
	ds_load_2addr_b64 v[0:3], v102 offset1:27
	ds_load_2addr_b64 v[4:7], v102 offset0:54 offset1:108
	ds_load_b64 v[16:17], v93 offset:648
	ds_load_2addr_b64 v[8:11], v102 offset0:135 offset1:162
	ds_load_2addr_b64 v[12:15], v102 offset0:189 offset1:216
	ds_load_b64 v[20:21], v102 offset:1944
	v_mad_co_u64_u32 v[18:19], null, s6, v72, 0
	v_mad_co_u64_u32 v[42:43], null, s4, v101, 0
	s_mov_b32 s0, 0xc901e574
	s_mov_b32 s1, 0x3f6e573a
	s_wait_dscnt 0x5
	v_dual_mul_f32 v22, v74, v1 :: v_dual_mul_f32 v25, v76, v2
	s_wait_dscnt 0x3
	v_dual_mul_f32 v28, v78, v4 :: v_dual_mul_f32 v29, v80, v17
	v_mul_f32_e32 v26, v78, v5
	s_wait_dscnt 0x1
	v_mul_f32_e32 v39, v90, v14
	s_wait_dscnt 0x0
	v_dual_mul_f32 v30, v82, v7 :: v_dual_mul_f32 v41, v92, v20
	v_fmac_f32_e32 v29, v79, v16
	v_dual_fmac_f32 v26, v77, v4 :: v_dual_mul_f32 v35, v88, v10
	v_mul_f32_e32 v4, v80, v16
	v_mul_f32_e32 v40, v92, v21
	v_fma_f32 v39, v89, v15, -v39
	v_fma_f32 v41, v91, v21, -v41
	v_dual_mul_f32 v23, v74, v0 :: v_dual_mul_f32 v24, v76, v3
	s_delay_alu instid0(VALU_DEP_4) | instskip(NEXT) | instid1(VALU_DEP_4)
	v_fmac_f32_e32 v40, v91, v20
	v_cvt_f64_f32_e32 v[20:21], v39
	v_dual_fmac_f32 v22, v73, v0 :: v_dual_mul_f32 v31, v82, v6
	s_delay_alu instid0(VALU_DEP_4) | instskip(SKIP_2) | instid1(VALU_DEP_4)
	v_fma_f32 v23, v73, v1, -v23
	v_dual_fmac_f32 v24, v75, v2 :: v_dual_mul_f32 v33, v84, v8
	v_fma_f32 v25, v75, v3, -v25
	v_cvt_f64_f32_e32 v[0:1], v22
	s_delay_alu instid0(VALU_DEP_4)
	v_cvt_f64_f32_e32 v[2:3], v23
	v_fma_f32 v5, v77, v5, -v28
	v_fmac_f32_e32 v30, v81, v6
	v_cvt_f64_f32_e32 v[22:23], v24
	v_cvt_f64_f32_e32 v[24:25], v25
	;; [unrolled: 1-line block ×3, first 2 shown]
	v_fma_f32 v16, v79, v17, -v4
	v_cvt_f64_f32_e32 v[4:5], v5
	v_mul_f32_e32 v34, v88, v11
	v_fma_f32 v31, v81, v7, -v31
	v_cvt_f64_f32_e32 v[6:7], v29
	v_cvt_f64_f32_e32 v[16:17], v16
	v_mul_f32_e32 v38, v90, v15
	v_fma_f32 v33, v83, v9, -v33
	v_fmac_f32_e32 v34, v87, v10
	v_fma_f32 v35, v87, v11, -v35
	s_delay_alu instid0(VALU_DEP_4) | instskip(NEXT) | instid1(VALU_DEP_4)
	v_fmac_f32_e32 v38, v89, v14
	v_cvt_f64_f32_e32 v[10:11], v33
	s_delay_alu instid0(VALU_DEP_2)
	v_cvt_f64_f32_e32 v[14:15], v38
	v_cvt_f64_f32_e32 v[38:39], v40
	;; [unrolled: 1-line block ×3, first 2 shown]
	v_mad_co_u64_u32 v[44:45], null, s7, v72, v[19:20]
	v_dual_mov_b32 v19, v43 :: v_dual_mul_f32 v36, v86, v13
	v_cvt_f64_f32_e32 v[28:29], v30
	v_cvt_f64_f32_e32 v[30:31], v31
	s_delay_alu instid0(VALU_DEP_3)
	v_mad_co_u64_u32 v[45:46], null, s5, v101, v[19:20]
	v_mov_b32_e32 v19, v44
	v_mul_f32_e32 v32, v84, v9
	v_fmac_f32_e32 v36, v85, v12
	v_mul_f32_e32 v12, v86, v12
	s_wait_alu 0xfffe
	v_mul_f64_e32 v[0:1], s[0:1], v[0:1]
	v_mul_f64_e32 v[2:3], s[0:1], v[2:3]
	v_dual_mov_b32 v43, v45 :: v_dual_fmac_f32 v32, v83, v8
	v_fma_f32 v12, v85, v13, -v12
	v_cvt_f64_f32_e32 v[36:37], v36
	v_mul_f64_e32 v[22:23], s[0:1], v[22:23]
	v_mul_f64_e32 v[24:25], s[0:1], v[24:25]
	v_cvt_f64_f32_e32 v[8:9], v32
	v_cvt_f64_f32_e32 v[32:33], v34
	;; [unrolled: 1-line block ×4, first 2 shown]
	v_mul_f64_e32 v[26:27], s[0:1], v[26:27]
	v_mul_f64_e32 v[4:5], s[0:1], v[4:5]
	;; [unrolled: 1-line block ×9, first 2 shown]
	v_lshlrev_b64_e32 v[18:19], 3, v[18:19]
	v_lshlrev_b64_e32 v[42:43], 3, v[42:43]
	s_delay_alu instid0(VALU_DEP_2)
	v_add_co_u32 v18, vcc_lo, s2, v18
	v_mul_f64_e32 v[28:29], s[0:1], v[28:29]
	v_mul_f64_e32 v[30:31], s[0:1], v[30:31]
	s_wait_alu 0xfffd
	v_add_co_ci_u32_e32 v19, vcc_lo, s3, v19, vcc_lo
	v_cvt_f32_f64_e32 v0, v[0:1]
	v_cvt_f32_f64_e32 v1, v[2:3]
	v_add_co_u32 v2, vcc_lo, v18, v42
	s_wait_alu 0xfffd
	v_add_co_ci_u32_e32 v3, vcc_lo, v19, v43, vcc_lo
	v_mul_f64_e32 v[36:37], s[0:1], v[36:37]
	v_cvt_f32_f64_e32 v18, v[22:23]
	v_mul_f64_e32 v[8:9], s[0:1], v[8:9]
	v_mul_f64_e32 v[32:33], s[0:1], v[32:33]
	;; [unrolled: 1-line block ×4, first 2 shown]
	v_cvt_f32_f64_e32 v19, v[24:25]
	v_cvt_f32_f64_e32 v24, v[26:27]
	;; [unrolled: 1-line block ×5, first 2 shown]
	s_mul_u64 s[0:1], s[4:5], 0xd8
	s_wait_alu 0xfffe
	v_add_co_u32 v22, vcc_lo, v2, s0
	s_wait_alu 0xfffd
	v_add_co_ci_u32_e32 v23, vcc_lo, s1, v3, vcc_lo
	s_delay_alu instid0(VALU_DEP_2) | instskip(SKIP_1) | instid1(VALU_DEP_2)
	v_add_co_u32 v6, vcc_lo, v22, s0
	s_wait_alu 0xfffd
	v_add_co_ci_u32_e32 v7, vcc_lo, s1, v23, vcc_lo
	v_cvt_f32_f64_e32 v16, v[28:29]
	v_cvt_f32_f64_e32 v17, v[30:31]
	global_store_b64 v[2:3], v[0:1], off
	v_cvt_f32_f64_e32 v26, v[36:37]
	v_cvt_f32_f64_e32 v8, v[8:9]
	;; [unrolled: 1-line block ×10, first 2 shown]
	v_add_co_u32 v20, vcc_lo, v6, s0
	s_wait_alu 0xfffd
	v_add_co_ci_u32_e32 v21, vcc_lo, s1, v7, vcc_lo
	global_store_b64 v[22:23], v[18:19], off
	v_add_co_u32 v28, vcc_lo, v20, s0
	s_wait_alu 0xfffd
	v_add_co_ci_u32_e32 v29, vcc_lo, s1, v21, vcc_lo
	global_store_b64 v[6:7], v[24:25], off
	;; [unrolled: 4-line block ×4, first 2 shown]
	v_add_co_u32 v6, vcc_lo, v2, s0
	s_wait_alu 0xfffd
	v_add_co_ci_u32_e32 v7, vcc_lo, s1, v3, vcc_lo
	s_delay_alu instid0(VALU_DEP_2) | instskip(SKIP_1) | instid1(VALU_DEP_2)
	v_add_co_u32 v4, vcc_lo, v6, s0
	s_wait_alu 0xfffd
	v_add_co_ci_u32_e32 v5, vcc_lo, s1, v7, vcc_lo
	s_delay_alu instid0(VALU_DEP_2) | instskip(SKIP_1) | instid1(VALU_DEP_2)
	v_add_co_u32 v16, vcc_lo, v4, s0
	s_wait_alu 0xfffd
	v_add_co_ci_u32_e32 v17, vcc_lo, s1, v5, vcc_lo
	global_store_b64 v[0:1], v[8:9], off
	global_store_b64 v[2:3], v[10:11], off
	;; [unrolled: 1-line block ×5, first 2 shown]
.LBB0_26:
	s_nop 0
	s_sendmsg sendmsg(MSG_DEALLOC_VGPRS)
	s_endpgm
	.section	.rodata,"a",@progbits
	.p2align	6, 0x0
	.amdhsa_kernel bluestein_single_back_len270_dim1_sp_op_CI_CI
		.amdhsa_group_segment_fixed_size 8640
		.amdhsa_private_segment_fixed_size 0
		.amdhsa_kernarg_size 104
		.amdhsa_user_sgpr_count 2
		.amdhsa_user_sgpr_dispatch_ptr 0
		.amdhsa_user_sgpr_queue_ptr 0
		.amdhsa_user_sgpr_kernarg_segment_ptr 1
		.amdhsa_user_sgpr_dispatch_id 0
		.amdhsa_user_sgpr_private_segment_size 0
		.amdhsa_wavefront_size32 1
		.amdhsa_uses_dynamic_stack 0
		.amdhsa_enable_private_segment 0
		.amdhsa_system_sgpr_workgroup_id_x 1
		.amdhsa_system_sgpr_workgroup_id_y 0
		.amdhsa_system_sgpr_workgroup_id_z 0
		.amdhsa_system_sgpr_workgroup_info 0
		.amdhsa_system_vgpr_workitem_id 0
		.amdhsa_next_free_vgpr 137
		.amdhsa_next_free_sgpr 20
		.amdhsa_reserve_vcc 1
		.amdhsa_float_round_mode_32 0
		.amdhsa_float_round_mode_16_64 0
		.amdhsa_float_denorm_mode_32 3
		.amdhsa_float_denorm_mode_16_64 3
		.amdhsa_fp16_overflow 0
		.amdhsa_workgroup_processor_mode 1
		.amdhsa_memory_ordered 1
		.amdhsa_forward_progress 0
		.amdhsa_round_robin_scheduling 0
		.amdhsa_exception_fp_ieee_invalid_op 0
		.amdhsa_exception_fp_denorm_src 0
		.amdhsa_exception_fp_ieee_div_zero 0
		.amdhsa_exception_fp_ieee_overflow 0
		.amdhsa_exception_fp_ieee_underflow 0
		.amdhsa_exception_fp_ieee_inexact 0
		.amdhsa_exception_int_div_zero 0
	.end_amdhsa_kernel
	.text
.Lfunc_end0:
	.size	bluestein_single_back_len270_dim1_sp_op_CI_CI, .Lfunc_end0-bluestein_single_back_len270_dim1_sp_op_CI_CI
                                        ; -- End function
	.section	.AMDGPU.csdata,"",@progbits
; Kernel info:
; codeLenInByte = 9928
; NumSgprs: 22
; NumVgprs: 137
; ScratchSize: 0
; MemoryBound: 0
; FloatMode: 240
; IeeeMode: 1
; LDSByteSize: 8640 bytes/workgroup (compile time only)
; SGPRBlocks: 2
; VGPRBlocks: 17
; NumSGPRsForWavesPerEU: 22
; NumVGPRsForWavesPerEU: 137
; Occupancy: 10
; WaveLimiterHint : 1
; COMPUTE_PGM_RSRC2:SCRATCH_EN: 0
; COMPUTE_PGM_RSRC2:USER_SGPR: 2
; COMPUTE_PGM_RSRC2:TRAP_HANDLER: 0
; COMPUTE_PGM_RSRC2:TGID_X_EN: 1
; COMPUTE_PGM_RSRC2:TGID_Y_EN: 0
; COMPUTE_PGM_RSRC2:TGID_Z_EN: 0
; COMPUTE_PGM_RSRC2:TIDIG_COMP_CNT: 0
	.text
	.p2alignl 7, 3214868480
	.fill 96, 4, 3214868480
	.type	__hip_cuid_9c3985398e102dff,@object ; @__hip_cuid_9c3985398e102dff
	.section	.bss,"aw",@nobits
	.globl	__hip_cuid_9c3985398e102dff
__hip_cuid_9c3985398e102dff:
	.byte	0                               ; 0x0
	.size	__hip_cuid_9c3985398e102dff, 1

	.ident	"AMD clang version 19.0.0git (https://github.com/RadeonOpenCompute/llvm-project roc-6.4.0 25133 c7fe45cf4b819c5991fe208aaa96edf142730f1d)"
	.section	".note.GNU-stack","",@progbits
	.addrsig
	.addrsig_sym __hip_cuid_9c3985398e102dff
	.amdgpu_metadata
---
amdhsa.kernels:
  - .args:
      - .actual_access:  read_only
        .address_space:  global
        .offset:         0
        .size:           8
        .value_kind:     global_buffer
      - .actual_access:  read_only
        .address_space:  global
        .offset:         8
        .size:           8
        .value_kind:     global_buffer
      - .actual_access:  read_only
        .address_space:  global
        .offset:         16
        .size:           8
        .value_kind:     global_buffer
      - .actual_access:  read_only
        .address_space:  global
        .offset:         24
        .size:           8
        .value_kind:     global_buffer
      - .actual_access:  read_only
        .address_space:  global
        .offset:         32
        .size:           8
        .value_kind:     global_buffer
      - .offset:         40
        .size:           8
        .value_kind:     by_value
      - .address_space:  global
        .offset:         48
        .size:           8
        .value_kind:     global_buffer
      - .address_space:  global
        .offset:         56
        .size:           8
        .value_kind:     global_buffer
      - .address_space:  global
        .offset:         64
        .size:           8
        .value_kind:     global_buffer
      - .address_space:  global
        .offset:         72
        .size:           8
        .value_kind:     global_buffer
      - .offset:         80
        .size:           4
        .value_kind:     by_value
      - .address_space:  global
        .offset:         88
        .size:           8
        .value_kind:     global_buffer
      - .address_space:  global
        .offset:         96
        .size:           8
        .value_kind:     global_buffer
    .group_segment_fixed_size: 8640
    .kernarg_segment_align: 8
    .kernarg_segment_size: 104
    .language:       OpenCL C
    .language_version:
      - 2
      - 0
    .max_flat_workgroup_size: 108
    .name:           bluestein_single_back_len270_dim1_sp_op_CI_CI
    .private_segment_fixed_size: 0
    .sgpr_count:     22
    .sgpr_spill_count: 0
    .symbol:         bluestein_single_back_len270_dim1_sp_op_CI_CI.kd
    .uniform_work_group_size: 1
    .uses_dynamic_stack: false
    .vgpr_count:     137
    .vgpr_spill_count: 0
    .wavefront_size: 32
    .workgroup_processor_mode: 1
amdhsa.target:   amdgcn-amd-amdhsa--gfx1201
amdhsa.version:
  - 1
  - 2
...

	.end_amdgpu_metadata
